;; amdgpu-corpus repo=ROCm/rocFFT kind=compiled arch=gfx906 opt=O3
	.text
	.amdgcn_target "amdgcn-amd-amdhsa--gfx906"
	.amdhsa_code_object_version 6
	.protected	fft_rtc_back_len1176_factors_2_2_2_3_7_7_wgs_56_tpt_56_halfLds_dp_ip_CI_unitstride_sbrr_dirReg ; -- Begin function fft_rtc_back_len1176_factors_2_2_2_3_7_7_wgs_56_tpt_56_halfLds_dp_ip_CI_unitstride_sbrr_dirReg
	.globl	fft_rtc_back_len1176_factors_2_2_2_3_7_7_wgs_56_tpt_56_halfLds_dp_ip_CI_unitstride_sbrr_dirReg
	.p2align	8
	.type	fft_rtc_back_len1176_factors_2_2_2_3_7_7_wgs_56_tpt_56_halfLds_dp_ip_CI_unitstride_sbrr_dirReg,@function
fft_rtc_back_len1176_factors_2_2_2_3_7_7_wgs_56_tpt_56_halfLds_dp_ip_CI_unitstride_sbrr_dirReg: ; @fft_rtc_back_len1176_factors_2_2_2_3_7_7_wgs_56_tpt_56_halfLds_dp_ip_CI_unitstride_sbrr_dirReg
; %bb.0:
	s_load_dwordx2 s[2:3], s[4:5], 0x50
	s_load_dwordx4 s[8:11], s[4:5], 0x0
	s_load_dwordx2 s[12:13], s[4:5], 0x18
	v_mul_u32_u24_e32 v1, 0x493, v0
	v_add_u32_sdwa v5, s6, v1 dst_sel:DWORD dst_unused:UNUSED_PAD src0_sel:DWORD src1_sel:WORD_1
	v_mov_b32_e32 v3, 0
	s_waitcnt lgkmcnt(0)
	v_cmp_lt_u64_e64 s[0:1], s[10:11], 2
	v_mov_b32_e32 v1, 0
	v_mov_b32_e32 v6, v3
	s_and_b64 vcc, exec, s[0:1]
	v_mov_b32_e32 v2, 0
	s_cbranch_vccnz .LBB0_8
; %bb.1:
	s_load_dwordx2 s[0:1], s[4:5], 0x10
	s_add_u32 s6, s12, 8
	s_addc_u32 s7, s13, 0
	v_mov_b32_e32 v1, 0
	v_mov_b32_e32 v2, 0
	s_waitcnt lgkmcnt(0)
	s_add_u32 s14, s0, 8
	s_addc_u32 s15, s1, 0
	s_mov_b64 s[16:17], 1
.LBB0_2:                                ; =>This Inner Loop Header: Depth=1
	s_load_dwordx2 s[18:19], s[14:15], 0x0
                                        ; implicit-def: $vgpr7_vgpr8
	s_waitcnt lgkmcnt(0)
	v_or_b32_e32 v4, s19, v6
	v_cmp_ne_u64_e32 vcc, 0, v[3:4]
	s_and_saveexec_b64 s[0:1], vcc
	s_xor_b64 s[20:21], exec, s[0:1]
	s_cbranch_execz .LBB0_4
; %bb.3:                                ;   in Loop: Header=BB0_2 Depth=1
	v_cvt_f32_u32_e32 v4, s18
	v_cvt_f32_u32_e32 v7, s19
	s_sub_u32 s0, 0, s18
	s_subb_u32 s1, 0, s19
	v_mac_f32_e32 v4, 0x4f800000, v7
	v_rcp_f32_e32 v4, v4
	v_mul_f32_e32 v4, 0x5f7ffffc, v4
	v_mul_f32_e32 v7, 0x2f800000, v4
	v_trunc_f32_e32 v7, v7
	v_mac_f32_e32 v4, 0xcf800000, v7
	v_cvt_u32_f32_e32 v7, v7
	v_cvt_u32_f32_e32 v4, v4
	v_mul_lo_u32 v8, s0, v7
	v_mul_hi_u32 v9, s0, v4
	v_mul_lo_u32 v11, s1, v4
	v_mul_lo_u32 v10, s0, v4
	v_add_u32_e32 v8, v9, v8
	v_add_u32_e32 v8, v8, v11
	v_mul_hi_u32 v9, v4, v10
	v_mul_lo_u32 v11, v4, v8
	v_mul_hi_u32 v13, v4, v8
	v_mul_hi_u32 v12, v7, v10
	v_mul_lo_u32 v10, v7, v10
	v_mul_hi_u32 v14, v7, v8
	v_add_co_u32_e32 v9, vcc, v9, v11
	v_addc_co_u32_e32 v11, vcc, 0, v13, vcc
	v_mul_lo_u32 v8, v7, v8
	v_add_co_u32_e32 v9, vcc, v9, v10
	v_addc_co_u32_e32 v9, vcc, v11, v12, vcc
	v_addc_co_u32_e32 v10, vcc, 0, v14, vcc
	v_add_co_u32_e32 v8, vcc, v9, v8
	v_addc_co_u32_e32 v9, vcc, 0, v10, vcc
	v_add_co_u32_e32 v4, vcc, v4, v8
	v_addc_co_u32_e32 v7, vcc, v7, v9, vcc
	v_mul_lo_u32 v8, s0, v7
	v_mul_hi_u32 v9, s0, v4
	v_mul_lo_u32 v10, s1, v4
	v_mul_lo_u32 v11, s0, v4
	v_add_u32_e32 v8, v9, v8
	v_add_u32_e32 v8, v8, v10
	v_mul_lo_u32 v12, v4, v8
	v_mul_hi_u32 v13, v4, v11
	v_mul_hi_u32 v14, v4, v8
	;; [unrolled: 1-line block ×3, first 2 shown]
	v_mul_lo_u32 v11, v7, v11
	v_mul_hi_u32 v9, v7, v8
	v_add_co_u32_e32 v12, vcc, v13, v12
	v_addc_co_u32_e32 v13, vcc, 0, v14, vcc
	v_mul_lo_u32 v8, v7, v8
	v_add_co_u32_e32 v11, vcc, v12, v11
	v_addc_co_u32_e32 v10, vcc, v13, v10, vcc
	v_addc_co_u32_e32 v9, vcc, 0, v9, vcc
	v_add_co_u32_e32 v8, vcc, v10, v8
	v_addc_co_u32_e32 v9, vcc, 0, v9, vcc
	v_add_co_u32_e32 v4, vcc, v4, v8
	v_addc_co_u32_e32 v9, vcc, v7, v9, vcc
	v_mad_u64_u32 v[7:8], s[0:1], v5, v9, 0
	v_mul_hi_u32 v10, v5, v4
	v_add_co_u32_e32 v11, vcc, v10, v7
	v_addc_co_u32_e32 v12, vcc, 0, v8, vcc
	v_mad_u64_u32 v[7:8], s[0:1], v6, v4, 0
	v_mad_u64_u32 v[9:10], s[0:1], v6, v9, 0
	v_add_co_u32_e32 v4, vcc, v11, v7
	v_addc_co_u32_e32 v4, vcc, v12, v8, vcc
	v_addc_co_u32_e32 v7, vcc, 0, v10, vcc
	v_add_co_u32_e32 v4, vcc, v4, v9
	v_addc_co_u32_e32 v9, vcc, 0, v7, vcc
	v_mul_lo_u32 v10, s19, v4
	v_mul_lo_u32 v11, s18, v9
	v_mad_u64_u32 v[7:8], s[0:1], s18, v4, 0
	v_add3_u32 v8, v8, v11, v10
	v_sub_u32_e32 v10, v6, v8
	v_mov_b32_e32 v11, s19
	v_sub_co_u32_e32 v7, vcc, v5, v7
	v_subb_co_u32_e64 v10, s[0:1], v10, v11, vcc
	v_subrev_co_u32_e64 v11, s[0:1], s18, v7
	v_subbrev_co_u32_e64 v10, s[0:1], 0, v10, s[0:1]
	v_cmp_le_u32_e64 s[0:1], s19, v10
	v_cndmask_b32_e64 v12, 0, -1, s[0:1]
	v_cmp_le_u32_e64 s[0:1], s18, v11
	v_cndmask_b32_e64 v11, 0, -1, s[0:1]
	v_cmp_eq_u32_e64 s[0:1], s19, v10
	v_cndmask_b32_e64 v10, v12, v11, s[0:1]
	v_add_co_u32_e64 v11, s[0:1], 2, v4
	v_addc_co_u32_e64 v12, s[0:1], 0, v9, s[0:1]
	v_add_co_u32_e64 v13, s[0:1], 1, v4
	v_addc_co_u32_e64 v14, s[0:1], 0, v9, s[0:1]
	v_subb_co_u32_e32 v8, vcc, v6, v8, vcc
	v_cmp_ne_u32_e64 s[0:1], 0, v10
	v_cmp_le_u32_e32 vcc, s19, v8
	v_cndmask_b32_e64 v10, v14, v12, s[0:1]
	v_cndmask_b32_e64 v12, 0, -1, vcc
	v_cmp_le_u32_e32 vcc, s18, v7
	v_cndmask_b32_e64 v7, 0, -1, vcc
	v_cmp_eq_u32_e32 vcc, s19, v8
	v_cndmask_b32_e32 v7, v12, v7, vcc
	v_cmp_ne_u32_e32 vcc, 0, v7
	v_cndmask_b32_e64 v7, v13, v11, s[0:1]
	v_cndmask_b32_e32 v8, v9, v10, vcc
	v_cndmask_b32_e32 v7, v4, v7, vcc
.LBB0_4:                                ;   in Loop: Header=BB0_2 Depth=1
	s_andn2_saveexec_b64 s[0:1], s[20:21]
	s_cbranch_execz .LBB0_6
; %bb.5:                                ;   in Loop: Header=BB0_2 Depth=1
	v_cvt_f32_u32_e32 v4, s18
	s_sub_i32 s20, 0, s18
	v_rcp_iflag_f32_e32 v4, v4
	v_mul_f32_e32 v4, 0x4f7ffffe, v4
	v_cvt_u32_f32_e32 v4, v4
	v_mul_lo_u32 v7, s20, v4
	v_mul_hi_u32 v7, v4, v7
	v_add_u32_e32 v4, v4, v7
	v_mul_hi_u32 v4, v5, v4
	v_mul_lo_u32 v7, v4, s18
	v_add_u32_e32 v8, 1, v4
	v_sub_u32_e32 v7, v5, v7
	v_subrev_u32_e32 v9, s18, v7
	v_cmp_le_u32_e32 vcc, s18, v7
	v_cndmask_b32_e32 v7, v7, v9, vcc
	v_cndmask_b32_e32 v4, v4, v8, vcc
	v_add_u32_e32 v8, 1, v4
	v_cmp_le_u32_e32 vcc, s18, v7
	v_cndmask_b32_e32 v7, v4, v8, vcc
	v_mov_b32_e32 v8, v3
.LBB0_6:                                ;   in Loop: Header=BB0_2 Depth=1
	s_or_b64 exec, exec, s[0:1]
	v_mul_lo_u32 v4, v8, s18
	v_mul_lo_u32 v11, v7, s19
	v_mad_u64_u32 v[9:10], s[0:1], v7, s18, 0
	s_load_dwordx2 s[0:1], s[6:7], 0x0
	s_add_u32 s16, s16, 1
	v_add3_u32 v4, v10, v11, v4
	v_sub_co_u32_e32 v5, vcc, v5, v9
	v_subb_co_u32_e32 v4, vcc, v6, v4, vcc
	s_waitcnt lgkmcnt(0)
	v_mul_lo_u32 v4, s0, v4
	v_mul_lo_u32 v6, s1, v5
	v_mad_u64_u32 v[1:2], s[0:1], s0, v5, v[1:2]
	s_addc_u32 s17, s17, 0
	s_add_u32 s6, s6, 8
	v_add3_u32 v2, v6, v2, v4
	v_mov_b32_e32 v4, s10
	v_mov_b32_e32 v5, s11
	s_addc_u32 s7, s7, 0
	v_cmp_ge_u64_e32 vcc, s[16:17], v[4:5]
	s_add_u32 s14, s14, 8
	s_addc_u32 s15, s15, 0
	s_cbranch_vccnz .LBB0_9
; %bb.7:                                ;   in Loop: Header=BB0_2 Depth=1
	v_mov_b32_e32 v5, v7
	v_mov_b32_e32 v6, v8
	s_branch .LBB0_2
.LBB0_8:
	v_mov_b32_e32 v8, v6
	v_mov_b32_e32 v7, v5
.LBB0_9:
	s_lshl_b64 s[0:1], s[10:11], 3
	s_add_u32 s0, s12, s0
	s_addc_u32 s1, s13, s1
	s_load_dwordx2 s[6:7], s[0:1], 0x0
	s_load_dwordx2 s[10:11], s[4:5], 0x20
                                        ; implicit-def: $vgpr128
	s_waitcnt lgkmcnt(0)
	v_mad_u64_u32 v[1:2], s[0:1], s6, v7, v[1:2]
	s_mov_b32 s0, 0x4924925
	v_mul_lo_u32 v3, s6, v8
	v_mul_lo_u32 v4, s7, v7
	v_mul_hi_u32 v5, v0, s0
	v_cmp_gt_u64_e64 s[0:1], s[10:11], v[7:8]
	v_cmp_le_u64_e32 vcc, s[10:11], v[7:8]
	v_add3_u32 v2, v4, v2, v3
	v_mul_u32_u24_e32 v3, 56, v5
	v_sub_u32_e32 v124, v0, v3
	s_and_saveexec_b64 s[4:5], vcc
	s_xor_b64 s[4:5], exec, s[4:5]
; %bb.10:
	v_or_b32_e32 v128, 0x1c0, v124
; %bb.11:
	s_or_saveexec_b64 s[4:5], s[4:5]
	v_lshlrev_b64 v[126:127], 4, v[1:2]
                                        ; implicit-def: $vgpr92_vgpr93
                                        ; implicit-def: $vgpr88_vgpr89
                                        ; implicit-def: $vgpr68_vgpr69
                                        ; implicit-def: $vgpr40_vgpr41
                                        ; implicit-def: $vgpr72_vgpr73
                                        ; implicit-def: $vgpr48_vgpr49
                                        ; implicit-def: $vgpr76_vgpr77
                                        ; implicit-def: $vgpr52_vgpr53
                                        ; implicit-def: $vgpr44_vgpr45
                                        ; implicit-def: $vgpr56_vgpr57
                                        ; implicit-def: $vgpr64_vgpr65
                                        ; implicit-def: $vgpr60_vgpr61
                                        ; implicit-def: $vgpr32_vgpr33
                                        ; implicit-def: $vgpr80_vgpr81
                                        ; implicit-def: $vgpr36_vgpr37
                                        ; implicit-def: $vgpr84_vgpr85
                                        ; implicit-def: $vgpr28_vgpr29
                                        ; implicit-def: $vgpr96_vgpr97
                                        ; implicit-def: $vgpr24_vgpr25
                                        ; implicit-def: $vgpr100_vgpr101
                                        ; implicit-def: $vgpr122_vgpr123
                                        ; implicit-def: $vgpr104_vgpr105
	s_xor_b64 exec, exec, s[4:5]
	s_cbranch_execz .LBB0_15
; %bb.12:
	v_mov_b32_e32 v125, 0
	v_mov_b32_e32 v0, s3
	v_add_co_u32_e32 v10, vcc, s2, v126
	v_addc_co_u32_e32 v11, vcc, v0, v127, vcc
	v_lshlrev_b64 v[0:1], 4, v[124:125]
	s_movk_i32 s6, 0x3000
	v_add_co_u32_e32 v0, vcc, v10, v0
	v_addc_co_u32_e32 v1, vcc, v11, v1, vcc
	v_add_co_u32_e32 v2, vcc, 0x2000, v0
	v_addc_co_u32_e32 v3, vcc, 0, v1, vcc
	;; [unrolled: 2-line block ×3, first 2 shown]
	s_movk_i32 s6, 0x1000
	v_or_b32_e32 v128, 0x1c0, v124
	v_mov_b32_e32 v129, v125
	v_add_co_u32_e32 v6, vcc, s6, v0
	v_lshlrev_b64 v[8:9], 4, v[128:129]
	v_addc_co_u32_e32 v7, vcc, 0, v1, vcc
	v_add_co_u32_e32 v8, vcc, v10, v8
	v_addc_co_u32_e32 v9, vcc, v11, v9, vcc
	s_movk_i32 s6, 0x4000
	v_add_co_u32_e32 v10, vcc, s6, v0
	global_load_dwordx4 v[22:25], v[2:3], off offset:2112
	global_load_dwordx4 v[26:29], v[2:3], off offset:3008
	;; [unrolled: 1-line block ×6, first 2 shown]
	v_addc_co_u32_e32 v11, vcc, 0, v1, vcc
	global_load_dwordx4 v[74:77], v[4:5], off offset:3392
	global_load_dwordx4 v[58:61], v[6:7], off offset:384
	;; [unrolled: 1-line block ×4, first 2 shown]
	global_load_dwordx4 v[46:49], v[8:9], off
	global_load_dwordx4 v[38:41], v[6:7], off offset:3968
	global_load_dwordx4 v[70:73], v[10:11], off offset:192
	;; [unrolled: 1-line block ×3, first 2 shown]
	global_load_dwordx4 v[102:105], v[0:1], off
	global_load_dwordx4 v[98:101], v[0:1], off offset:896
	global_load_dwordx4 v[94:97], v[0:1], off offset:1792
	global_load_dwordx4 v[82:85], v[0:1], off offset:2688
	global_load_dwordx4 v[120:123], v[2:3], off offset:1216
	global_load_dwordx4 v[78:81], v[0:1], off offset:3584
	v_cmp_gt_u32_e32 vcc, 28, v124
                                        ; implicit-def: $vgpr86_vgpr87
                                        ; implicit-def: $vgpr90_vgpr91
	s_and_saveexec_b64 s[6:7], vcc
	s_cbranch_execz .LBB0_14
; %bb.13:
	v_add_co_u32_e32 v2, vcc, 0x2000, v0
	v_addc_co_u32_e32 v3, vcc, 0, v1, vcc
	v_add_co_u32_e32 v0, vcc, 0x4000, v0
	v_addc_co_u32_e32 v1, vcc, 0, v1, vcc
	global_load_dwordx4 v[86:89], v[2:3], off offset:768
	global_load_dwordx4 v[90:93], v[0:1], off offset:1984
.LBB0_14:
	s_or_b64 exec, exec, s[6:7]
.LBB0_15:
	s_or_b64 exec, exec, s[4:5]
	s_waitcnt vmcnt(1)
	v_add_f64 v[2:3], v[102:103], -v[120:121]
	v_add_f64 v[6:7], v[98:99], -v[22:23]
	;; [unrolled: 1-line block ×3, first 2 shown]
	v_add_u32_e32 v134, 56, v124
	v_add_u32_e32 v133, 0x70, v124
	v_add_f64 v[14:15], v[82:83], -v[34:35]
	s_waitcnt vmcnt(0)
	v_add_f64 v[18:19], v[78:79], -v[30:31]
	v_lshl_add_u32 v30, v124, 4, 0
	v_fma_f64 v[0:1], v[102:103], 2.0, -v[2:3]
	v_fma_f64 v[4:5], v[98:99], 2.0, -v[6:7]
	;; [unrolled: 1-line block ×3, first 2 shown]
	v_lshl_add_u32 v31, v134, 4, 0
	v_lshl_add_u32 v34, v133, 4, 0
	v_add_f64 v[22:23], v[58:59], -v[62:63]
	v_add_f64 v[108:109], v[54:55], -v[42:43]
	;; [unrolled: 1-line block ×3, first 2 shown]
	ds_write_b128 v30, v[0:3]
	ds_write_b128 v31, v[4:7]
	;; [unrolled: 1-line block ×3, first 2 shown]
	v_add_f64 v[6:7], v[46:47], -v[70:71]
	v_add_f64 v[10:11], v[38:39], -v[66:67]
	;; [unrolled: 1-line block ×3, first 2 shown]
	v_fma_f64 v[12:13], v[82:83], 2.0, -v[14:15]
	v_fma_f64 v[16:17], v[78:79], 2.0, -v[18:19]
	v_fma_f64 v[20:21], v[58:59], 2.0, -v[22:23]
	v_fma_f64 v[106:107], v[54:55], 2.0, -v[108:109]
	v_fma_f64 v[110:111], v[50:51], 2.0, -v[112:113]
	v_fma_f64 v[4:5], v[46:47], 2.0, -v[6:7]
	v_fma_f64 v[8:9], v[38:39], 2.0, -v[10:11]
	v_fma_f64 v[0:1], v[86:87], 2.0, -v[2:3]
	v_add_u32_e32 v135, 0xa8, v124
	v_add_u32_e32 v136, 0xe0, v124
	;; [unrolled: 1-line block ×7, first 2 shown]
	v_lshl_add_u32 v35, v135, 4, 0
	v_lshl_add_u32 v42, v136, 4, 0
	;; [unrolled: 1-line block ×7, first 2 shown]
	v_cmp_gt_u32_e32 vcc, 28, v124
	v_lshl_add_u32 v38, v74, 4, 0
	ds_write_b128 v35, v[12:15]
	ds_write_b128 v42, v[16:19]
	;; [unrolled: 1-line block ×7, first 2 shown]
	s_and_saveexec_b64 s[4:5], vcc
	s_cbranch_execz .LBB0_17
; %bb.16:
	ds_write_b128 v38, v[0:3]
.LBB0_17:
	s_or_b64 exec, exec, s[4:5]
	v_lshl_add_u32 v125, v124, 3, 0
	v_add_u32_e32 v4, 0xc00, v125
	s_waitcnt lgkmcnt(0)
	; wave barrier
	s_waitcnt lgkmcnt(0)
	ds_read2_b64 v[20:23], v4 offset0:120 offset1:204
	v_add_u32_e32 v4, 0x1000, v125
	ds_read2_b64 v[106:109], v125 offset1:56
	ds_read2_b64 v[16:19], v4 offset0:132 offset1:188
	ds_read2_b64 v[110:113], v125 offset0:112 offset1:168
	v_add_u32_e32 v4, 0x1400, v125
	ds_read2_b64 v[12:15], v4 offset0:116 offset1:172
	v_add_u32_e32 v4, 0x400, v125
	v_add_u32_e32 v8, 0x800, v125
	v_lshlrev_b32_e32 v26, 3, v128
	ds_read2_b64 v[114:117], v4 offset0:96 offset1:152
	v_add_u32_e32 v4, 0x1800, v125
	ds_read2_b64 v[118:121], v8 offset0:80 offset1:136
	v_add_u32_e32 v8, 0x1c00, v125
	v_sub_u32_e32 v27, v67, v26
	ds_read2_b64 v[4:7], v4 offset0:100 offset1:156
	ds_read2_b64 v[8:11], v8 offset0:84 offset1:140
	ds_read_b64 v[70:71], v27
	ds_read_b64 v[129:130], v125 offset:8736
	s_and_saveexec_b64 s[4:5], vcc
	s_cbranch_execz .LBB0_19
; %bb.18:
	ds_read_b64 v[0:1], v125 offset:4480
	ds_read_b64 v[2:3], v125 offset:9184
.LBB0_19:
	s_or_b64 exec, exec, s[4:5]
	v_add_f64 v[141:142], v[104:105], -v[122:123]
	v_sub_u32_e32 v78, 0, v26
	v_add_f64 v[26:27], v[88:89], -v[92:93]
	v_add_f64 v[102:103], v[100:101], -v[24:25]
	v_add_f64 v[98:99], v[96:97], -v[28:29]
	v_add_f64 v[86:87], v[84:85], -v[36:37]
	v_add_f64 v[82:83], v[80:81], -v[32:33]
	v_add_f64 v[62:63], v[60:61], -v[64:65]
	v_add_f64 v[58:59], v[56:57], -v[44:45]
	v_add_f64 v[54:55], v[52:53], -v[76:77]
	v_fma_f64 v[139:140], v[104:105], 2.0, -v[141:142]
	v_add_f64 v[94:95], v[48:49], -v[72:73]
	v_add_f64 v[145:146], v[40:41], -v[68:69]
	v_fma_f64 v[24:25], v[88:89], 2.0, -v[26:27]
	v_fma_f64 v[100:101], v[100:101], 2.0, -v[102:103]
	;; [unrolled: 1-line block ×10, first 2 shown]
	s_waitcnt lgkmcnt(0)
	; wave barrier
	s_waitcnt lgkmcnt(0)
	ds_write_b128 v30, v[139:142]
	ds_write_b128 v31, v[100:103]
	;; [unrolled: 1-line block ×10, first 2 shown]
	s_and_saveexec_b64 s[4:5], vcc
	s_cbranch_execz .LBB0_21
; %bb.20:
	ds_write_b128 v38, v[24:27]
.LBB0_21:
	s_or_b64 exec, exec, s[4:5]
	v_add_u32_e32 v28, 0xc00, v125
	v_add_u32_e32 v32, 0x1000, v125
	;; [unrolled: 1-line block ×4, first 2 shown]
	s_waitcnt lgkmcnt(0)
	; wave barrier
	s_waitcnt lgkmcnt(0)
	ds_read2_b64 v[44:47], v125 offset1:56
	ds_read2_b64 v[28:31], v28 offset0:120 offset1:204
	ds_read2_b64 v[56:59], v32 offset0:132 offset1:188
	;; [unrolled: 1-line block ×4, first 2 shown]
	v_add_u32_e32 v36, 0x400, v125
	ds_read2_b64 v[48:51], v40 offset0:100 offset1:156
	v_add_u32_e32 v40, 0x800, v125
	v_add_u32_e32 v52, 0x1c00, v125
	;; [unrolled: 1-line block ×3, first 2 shown]
	ds_read2_b64 v[36:39], v36 offset0:96 offset1:152
	ds_read2_b64 v[40:43], v40 offset0:80 offset1:136
	;; [unrolled: 1-line block ×3, first 2 shown]
	ds_read_b64 v[122:123], v148
	ds_read_b64 v[131:132], v125 offset:8736
	v_lshlrev_b32_e32 v139, 1, v124
	v_lshlrev_b32_e32 v140, 1, v134
	;; [unrolled: 1-line block ×10, first 2 shown]
	s_and_saveexec_b64 s[4:5], vcc
	s_cbranch_execz .LBB0_23
; %bb.22:
	ds_read_b64 v[24:25], v125 offset:4480
	ds_read_b64 v[26:27], v125 offset:9184
.LBB0_23:
	s_or_b64 exec, exec, s[4:5]
	v_and_b32_e32 v149, 1, v124
	v_lshlrev_b32_e32 v64, 4, v149
	global_load_dwordx4 v[64:67], v64, s[8:9]
	s_movk_i32 s4, 0x7c
	s_movk_i32 s5, 0xfc
	;; [unrolled: 1-line block ×3, first 2 shown]
	v_and_or_b32 v68, v139, s4, v149
	v_and_or_b32 v69, v140, s5, v149
	s_movk_i32 s7, 0x3fc
	s_movk_i32 s10, 0x2fc
	v_and_or_b32 v72, v141, s6, v149
	v_and_or_b32 v73, v142, s6, v149
	v_lshl_add_u32 v150, v68, 3, 0
	v_lshl_add_u32 v151, v69, 3, 0
	v_and_or_b32 v75, v143, s7, v149
	v_and_or_b32 v76, v144, s10, v149
	v_lshl_add_u32 v152, v72, 3, 0
	v_lshl_add_u32 v153, v73, 3, 0
	s_movk_i32 s11, 0x7fc
	v_and_or_b32 v77, v145, s7, v149
	v_and_or_b32 v78, v146, s7, v149
	v_lshl_add_u32 v154, v75, 3, 0
	v_lshl_add_u32 v155, v76, 3, 0
	v_and_or_b32 v79, v128, s7, v149
	v_and_or_b32 v80, v147, s11, v149
	v_lshl_add_u32 v156, v77, 3, 0
	v_lshl_add_u32 v157, v78, 3, 0
	;; [unrolled: 1-line block ×4, first 2 shown]
	s_waitcnt lgkmcnt(0)
	; wave barrier
	s_waitcnt vmcnt(0) lgkmcnt(0)
	v_mul_f64 v[68:69], v[30:31], v[66:67]
	v_mul_f64 v[91:92], v[26:27], v[66:67]
	v_mul_f64 v[72:73], v[56:57], v[66:67]
	v_mul_f64 v[75:76], v[58:59], v[66:67]
	v_mul_f64 v[77:78], v[60:61], v[66:67]
	v_mul_f64 v[79:80], v[62:63], v[66:67]
	v_mul_f64 v[81:82], v[48:49], v[66:67]
	v_mul_f64 v[83:84], v[50:51], v[66:67]
	v_mul_f64 v[85:86], v[52:53], v[66:67]
	v_mul_f64 v[87:88], v[54:55], v[66:67]
	v_mul_f64 v[89:90], v[131:132], v[66:67]
	v_fma_f64 v[68:69], v[22:23], v[64:65], v[68:69]
	v_fma_f64 v[91:92], v[2:3], v[64:65], v[91:92]
	;; [unrolled: 1-line block ×11, first 2 shown]
	v_add_f64 v[68:69], v[106:107], -v[68:69]
	v_add_f64 v[104:105], v[0:1], -v[91:92]
	;; [unrolled: 1-line block ×11, first 2 shown]
	v_fma_f64 v[91:92], v[106:107], 2.0, -v[68:69]
	v_fma_f64 v[106:107], v[0:1], 2.0, -v[104:105]
	;; [unrolled: 1-line block ×9, first 2 shown]
	v_lshlrev_b32_e32 v112, 1, v74
	v_fma_f64 v[70:71], v[70:71], 2.0, -v[87:88]
	v_fma_f64 v[20:21], v[20:21], 2.0, -v[89:90]
	ds_write2_b64 v150, v[91:92], v[68:69] offset1:2
	ds_write2_b64 v151, v[93:94], v[72:73] offset1:2
	;; [unrolled: 1-line block ×10, first 2 shown]
	s_and_saveexec_b64 s[4:5], vcc
	s_cbranch_execz .LBB0_25
; %bb.24:
	s_movk_i32 s6, 0x4fc
	v_and_or_b32 v0, v112, s6, v149
	v_lshl_add_u32 v0, v0, 3, 0
	ds_write2_b64 v0, v[106:107], v[104:105] offset1:2
.LBB0_25:
	s_or_b64 exec, exec, s[4:5]
	v_add_u32_e32 v0, 0xc00, v125
	s_waitcnt lgkmcnt(0)
	; wave barrier
	s_waitcnt lgkmcnt(0)
	ds_read2_b64 v[84:87], v0 offset0:120 offset1:204
	v_add_u32_e32 v0, 0x1000, v125
	ds_read2_b64 v[88:91], v125 offset1:56
	ds_read2_b64 v[80:83], v0 offset0:132 offset1:188
	ds_read2_b64 v[92:95], v125 offset0:112 offset1:168
	v_add_u32_e32 v0, 0x1400, v125
	ds_read2_b64 v[72:75], v0 offset0:116 offset1:172
	v_add_u32_e32 v0, 0x400, v125
	ds_read2_b64 v[96:99], v0 offset0:96 offset1:152
	v_add_u32_e32 v0, 0x1800, v125
	ds_read2_b64 v[76:79], v0 offset0:100 offset1:156
	v_add_u32_e32 v0, 0x800, v125
	ds_read2_b64 v[100:103], v0 offset0:80 offset1:136
	v_add_u32_e32 v0, 0x1c00, v125
	ds_read2_b64 v[68:71], v0 offset0:84 offset1:140
	ds_read_b64 v[110:111], v148
	ds_read_b64 v[108:109], v125 offset:8736
	s_and_saveexec_b64 s[4:5], vcc
	s_cbranch_execz .LBB0_27
; %bb.26:
	ds_read_b64 v[106:107], v125 offset:4480
	ds_read_b64 v[104:105], v125 offset:9184
.LBB0_27:
	s_or_b64 exec, exec, s[4:5]
	v_mul_f64 v[0:1], v[22:23], v[66:67]
	v_mul_f64 v[16:17], v[16:17], v[66:67]
	;; [unrolled: 1-line block ×8, first 2 shown]
	v_fma_f64 v[0:1], v[30:31], v[64:65], -v[0:1]
	v_mul_f64 v[8:9], v[8:9], v[66:67]
	v_fma_f64 v[16:17], v[56:57], v[64:65], -v[16:17]
	v_mul_f64 v[10:11], v[10:11], v[66:67]
	v_mul_f64 v[20:21], v[129:130], v[66:67]
	v_fma_f64 v[2:3], v[26:27], v[64:65], -v[2:3]
	v_fma_f64 v[18:19], v[58:59], v[64:65], -v[18:19]
	v_fma_f64 v[12:13], v[60:61], v[64:65], -v[12:13]
	v_add_f64 v[0:1], v[44:45], -v[0:1]
	v_fma_f64 v[14:15], v[62:63], v[64:65], -v[14:15]
	v_fma_f64 v[4:5], v[48:49], v[64:65], -v[4:5]
	;; [unrolled: 1-line block ×4, first 2 shown]
	v_add_f64 v[16:17], v[46:47], -v[16:17]
	v_fma_f64 v[10:11], v[54:55], v[64:65], -v[10:11]
	v_fma_f64 v[20:21], v[131:132], v[64:65], -v[20:21]
	v_fma_f64 v[22:23], v[44:45], 2.0, -v[0:1]
	v_add_f64 v[44:45], v[24:25], -v[2:3]
	v_add_f64 v[18:19], v[32:33], -v[18:19]
	;; [unrolled: 1-line block ×7, first 2 shown]
	v_fma_f64 v[26:27], v[46:47], 2.0, -v[16:17]
	v_add_f64 v[10:11], v[122:123], -v[10:11]
	v_add_f64 v[20:21], v[28:29], -v[20:21]
	v_fma_f64 v[46:47], v[24:25], 2.0, -v[44:45]
	v_fma_f64 v[30:31], v[32:33], 2.0, -v[18:19]
	;; [unrolled: 1-line block ×9, first 2 shown]
	s_waitcnt lgkmcnt(0)
	; wave barrier
	s_waitcnt lgkmcnt(0)
	ds_write2_b64 v150, v[22:23], v[0:1] offset1:2
	ds_write2_b64 v151, v[26:27], v[16:17] offset1:2
	;; [unrolled: 1-line block ×10, first 2 shown]
	s_and_saveexec_b64 s[4:5], vcc
	s_cbranch_execz .LBB0_29
; %bb.28:
	s_movk_i32 s6, 0x4fc
	v_and_or_b32 v0, v112, s6, v149
	v_lshl_add_u32 v0, v0, 3, 0
	ds_write2_b64 v0, v[46:47], v[44:45] offset1:2
.LBB0_29:
	s_or_b64 exec, exec, s[4:5]
	v_add_u32_e32 v0, 0xc00, v125
	v_add_u32_e32 v4, 0x1000, v125
	;; [unrolled: 1-line block ×3, first 2 shown]
	s_waitcnt lgkmcnt(0)
	; wave barrier
	s_waitcnt lgkmcnt(0)
	ds_read2_b64 v[20:23], v125 offset1:56
	ds_read2_b64 v[0:3], v0 offset0:120 offset1:204
	ds_read2_b64 v[28:31], v4 offset0:132 offset1:188
	;; [unrolled: 1-line block ×3, first 2 shown]
	v_add_u32_e32 v8, 0x1400, v125
	ds_read2_b64 v[24:27], v12 offset0:100 offset1:156
	v_add_u32_e32 v12, 0x800, v125
	ds_read2_b64 v[32:35], v8 offset0:116 offset1:172
	;; [unrolled: 2-line block ×4, first 2 shown]
	ds_read2_b64 v[36:39], v12 offset0:84 offset1:140
	ds_read_b64 v[40:41], v148
	ds_read_b64 v[42:43], v125 offset:8736
	s_and_saveexec_b64 s[4:5], vcc
	s_cbranch_execz .LBB0_31
; %bb.30:
	ds_read_b64 v[46:47], v125 offset:4480
	ds_read_b64 v[44:45], v125 offset:9184
.LBB0_31:
	s_or_b64 exec, exec, s[4:5]
	v_and_b32_e32 v55, 3, v124
	v_lshlrev_b32_e32 v12, 4, v55
	global_load_dwordx4 v[12:15], v12, s[8:9] offset:32
	s_movk_i32 s4, 0x78
	s_movk_i32 s5, 0xf8
	;; [unrolled: 1-line block ×3, first 2 shown]
	v_and_or_b32 v48, v139, s4, v55
	v_and_or_b32 v49, v140, s5, v55
	s_movk_i32 s7, 0x3f8
	s_movk_i32 s10, 0x2f8
	v_and_or_b32 v50, v141, s6, v55
	v_and_or_b32 v51, v142, s6, v55
	v_lshl_add_u32 v56, v48, 3, 0
	v_lshl_add_u32 v57, v49, 3, 0
	v_and_or_b32 v52, v143, s7, v55
	v_and_or_b32 v53, v144, s10, v55
	v_lshl_add_u32 v58, v50, 3, 0
	v_lshl_add_u32 v59, v51, 3, 0
	;; [unrolled: 1-line block ×4, first 2 shown]
	v_and_or_b32 v64, v128, s7, v55
	s_movk_i32 s11, 0x7f8
	v_and_or_b32 v54, v145, s7, v55
	v_and_or_b32 v63, v146, s7, v55
	;; [unrolled: 1-line block ×3, first 2 shown]
	v_lshl_add_u32 v62, v54, 3, 0
	v_lshl_add_u32 v63, v63, 3, 0
	;; [unrolled: 1-line block ×4, first 2 shown]
	s_waitcnt lgkmcnt(0)
	; wave barrier
	s_waitcnt vmcnt(0) lgkmcnt(0)
	v_mul_f64 v[48:49], v[2:3], v[14:15]
	v_mul_f64 v[50:51], v[28:29], v[14:15]
	;; [unrolled: 1-line block ×10, first 2 shown]
	v_fma_f64 v[48:49], v[86:87], v[12:13], v[48:49]
	v_fma_f64 v[50:51], v[80:81], v[12:13], v[50:51]
	v_fma_f64 v[52:53], v[82:83], v[12:13], v[52:53]
	v_fma_f64 v[66:67], v[72:73], v[12:13], v[66:67]
	v_fma_f64 v[113:114], v[74:75], v[12:13], v[113:114]
	v_fma_f64 v[115:116], v[76:77], v[12:13], v[115:116]
	v_fma_f64 v[117:118], v[78:79], v[12:13], v[117:118]
	v_fma_f64 v[119:120], v[68:69], v[12:13], v[119:120]
	v_fma_f64 v[121:122], v[70:71], v[12:13], v[121:122]
	v_fma_f64 v[128:129], v[108:109], v[12:13], v[128:129]
	v_add_f64 v[48:49], v[88:89], -v[48:49]
	v_add_f64 v[50:51], v[90:91], -v[50:51]
	;; [unrolled: 1-line block ×10, first 2 shown]
	v_fma_f64 v[88:89], v[88:89], 2.0, -v[48:49]
	v_fma_f64 v[90:91], v[90:91], 2.0, -v[50:51]
	;; [unrolled: 1-line block ×10, first 2 shown]
	ds_write2_b64 v56, v[88:89], v[48:49] offset1:4
	ds_write2_b64 v57, v[90:91], v[50:51] offset1:4
	ds_write2_b64 v58, v[92:93], v[52:53] offset1:4
	ds_write2_b64 v59, v[94:95], v[66:67] offset1:4
	ds_write2_b64 v60, v[96:97], v[113:114] offset1:4
	ds_write2_b64 v61, v[98:99], v[115:116] offset1:4
	ds_write2_b64 v62, v[100:101], v[117:118] offset1:4
	ds_write2_b64 v63, v[102:103], v[119:120] offset1:4
	ds_write2_b64 v64, v[110:111], v[121:122] offset1:4
	ds_write2_b64 v65, v[84:85], v[128:129] offset1:4
	s_and_saveexec_b64 s[4:5], vcc
	s_cbranch_execz .LBB0_33
; %bb.32:
	v_mul_f64 v[48:49], v[44:45], v[14:15]
	s_movk_i32 s6, 0x4f8
	v_and_or_b32 v52, v112, s6, v55
	v_lshl_add_u32 v52, v52, 3, 0
	v_fma_f64 v[48:49], v[104:105], v[12:13], v[48:49]
	v_add_f64 v[48:49], v[106:107], -v[48:49]
	v_fma_f64 v[50:51], v[106:107], 2.0, -v[48:49]
	ds_write2_b64 v52, v[50:51], v[48:49] offset1:4
.LBB0_33:
	s_or_b64 exec, exec, s[4:5]
	v_mul_f64 v[48:49], v[86:87], v[14:15]
	v_mul_f64 v[50:51], v[80:81], v[14:15]
	;; [unrolled: 1-line block ×7, first 2 shown]
	s_waitcnt lgkmcnt(0)
	v_fma_f64 v[2:3], v[2:3], v[12:13], -v[48:49]
	v_fma_f64 v[28:29], v[28:29], v[12:13], -v[50:51]
	v_mul_f64 v[48:49], v[68:69], v[14:15]
	v_mul_f64 v[50:51], v[70:71], v[14:15]
	v_mul_f64 v[68:69], v[108:109], v[14:15]
	v_fma_f64 v[32:33], v[32:33], v[12:13], -v[66:67]
	v_fma_f64 v[34:35], v[34:35], v[12:13], -v[72:73]
	;; [unrolled: 1-line block ×3, first 2 shown]
	v_add_f64 v[66:67], v[20:21], -v[2:3]
	v_add_f64 v[70:71], v[22:23], -v[28:29]
	v_fma_f64 v[2:3], v[24:25], v[12:13], -v[74:75]
	v_fma_f64 v[24:25], v[26:27], v[12:13], -v[76:77]
	;; [unrolled: 1-line block ×5, first 2 shown]
	v_add_f64 v[78:79], v[8:9], -v[34:35]
	v_add_f64 v[68:69], v[4:5], -v[30:31]
	;; [unrolled: 1-line block ×8, first 2 shown]
	v_fma_f64 v[72:73], v[20:21], 2.0, -v[66:67]
	v_add_u32_e32 v50, 0x800, v125
	v_add_u32_e32 v52, 0x1800, v125
	v_fma_f64 v[74:75], v[22:23], 2.0, -v[70:71]
	v_fma_f64 v[94:95], v[8:9], 2.0, -v[78:79]
	;; [unrolled: 1-line block ×7, first 2 shown]
	; wave barrier
	ds_read2_b64 v[16:19], v125 offset1:56
	ds_read2_b64 v[0:3], v50 offset0:80 offset1:136
	ds_read2_b64 v[40:43], v52 offset0:16 offset1:72
	;; [unrolled: 1-line block ×5, first 2 shown]
	v_add_u32_e32 v53, 0x1000, v125
	v_add_u32_e32 v51, 0x400, v125
	;; [unrolled: 1-line block ×3, first 2 shown]
	v_fma_f64 v[90:91], v[4:5], 2.0, -v[68:69]
	v_fma_f64 v[92:93], v[6:7], 2.0, -v[76:77]
	ds_read2_b64 v[28:31], v53 offset0:48 offset1:104
	ds_read2_b64 v[4:7], v51 offset0:96 offset1:152
	;; [unrolled: 1-line block ×4, first 2 shown]
	ds_read_b64 v[48:49], v125 offset:8960
	s_waitcnt lgkmcnt(0)
	; wave barrier
	s_waitcnt lgkmcnt(0)
	ds_write2_b64 v56, v[72:73], v[66:67] offset1:4
	ds_write2_b64 v57, v[74:75], v[70:71] offset1:4
	;; [unrolled: 1-line block ×10, first 2 shown]
	s_and_saveexec_b64 s[4:5], vcc
	s_cbranch_execz .LBB0_35
; %bb.34:
	v_mul_f64 v[14:15], v[104:105], v[14:15]
	s_movk_i32 s6, 0x4f8
	v_fma_f64 v[12:13], v[44:45], v[12:13], -v[14:15]
	v_and_or_b32 v44, v112, s6, v55
	v_lshl_add_u32 v44, v44, 3, 0
	v_add_f64 v[12:13], v[46:47], -v[12:13]
	v_fma_f64 v[14:15], v[46:47], 2.0, -v[12:13]
	ds_write2_b64 v44, v[14:15], v[12:13] offset1:4
.LBB0_35:
	s_or_b64 exec, exec, s[4:5]
	v_and_b32_e32 v123, 7, v124
	v_lshlrev_b32_e32 v55, 5, v123
	s_waitcnt lgkmcnt(0)
	; wave barrier
	s_waitcnt lgkmcnt(0)
	global_load_dwordx4 v[12:15], v55, s[8:9] offset:96
	global_load_dwordx4 v[44:47], v55, s[8:9] offset:112
	ds_read2_b64 v[55:58], v125 offset1:56
	ds_read2_b64 v[59:62], v50 offset0:80 offset1:136
	ds_read2_b64 v[63:66], v52 offset0:16 offset1:72
	;; [unrolled: 1-line block ×9, first 2 shown]
	ds_read_b64 v[95:96], v125 offset:8960
	s_mov_b32 s4, 0xe8584caa
	s_mov_b32 s5, 0xbfebb67a
	;; [unrolled: 1-line block ×4, first 2 shown]
	s_waitcnt lgkmcnt(0)
	; wave barrier
	s_waitcnt lgkmcnt(0)
	s_mov_b32 s16, 0x36b3c0b5
	s_mov_b32 s18, 0xe976ee23
	;; [unrolled: 1-line block ×16, first 2 shown]
	s_waitcnt vmcnt(1)
	v_mul_f64 v[107:108], v[36:37], v[14:15]
	s_waitcnt vmcnt(0)
	v_mul_f64 v[111:112], v[42:43], v[46:47]
	v_mul_f64 v[97:98], v[61:62], v[14:15]
	;; [unrolled: 1-line block ×9, first 2 shown]
	v_fma_f64 v[67:68], v[67:68], v[12:13], -v[107:108]
	v_fma_f64 v[65:66], v[65:66], v[44:45], -v[111:112]
	v_mul_f64 v[113:114], v[69:70], v[14:15]
	v_mul_f64 v[117:118], v[75:76], v[46:47]
	;; [unrolled: 1-line block ×18, first 2 shown]
	v_fma_f64 v[2:3], v[2:3], v[12:13], v[97:98]
	v_fma_f64 v[61:62], v[61:62], v[12:13], -v[99:100]
	v_fma_f64 v[40:41], v[40:41], v[44:45], v[101:102]
	v_fma_f64 v[63:64], v[63:64], v[44:45], -v[103:104]
	v_fma_f64 v[36:37], v[36:37], v[12:13], v[105:106]
	v_fma_f64 v[42:43], v[42:43], v[44:45], v[109:110]
	v_fma_f64 v[69:70], v[69:70], v[12:13], -v[115:116]
	v_fma_f64 v[75:76], v[75:76], v[44:45], -v[119:120]
	v_add_f64 v[101:102], v[67:68], -v[65:66]
	v_add_f64 v[103:104], v[57:58], v[67:68]
	v_add_f64 v[67:68], v[67:68], v[65:66]
	v_fma_f64 v[38:39], v[38:39], v[12:13], v[113:114]
	v_fma_f64 v[32:33], v[32:33], v[44:45], v[117:118]
	;; [unrolled: 1-line block ×3, first 2 shown]
	v_fma_f64 v[79:80], v[79:80], v[12:13], -v[128:129]
	v_fma_f64 v[34:35], v[34:35], v[44:45], v[130:131]
	v_fma_f64 v[77:78], v[77:78], v[44:45], -v[139:140]
	v_fma_f64 v[30:31], v[30:31], v[12:13], v[141:142]
	v_fma_f64 v[81:82], v[81:82], v[12:13], -v[143:144]
	v_fma_f64 v[24:25], v[24:25], v[44:45], v[145:146]
	v_fma_f64 v[87:88], v[87:88], v[44:45], -v[147:148]
	v_fma_f64 v[20:21], v[20:21], v[12:13], v[149:150]
	v_fma_f64 v[91:92], v[91:92], v[12:13], -v[151:152]
	v_fma_f64 v[26:27], v[26:27], v[44:45], v[153:154]
	v_fma_f64 v[89:90], v[89:90], v[44:45], -v[155:156]
	v_fma_f64 v[22:23], v[22:23], v[12:13], v[157:158]
	v_fma_f64 v[12:13], v[93:94], v[12:13], -v[14:15]
	v_fma_f64 v[14:15], v[48:49], v[44:45], v[159:160]
	v_fma_f64 v[44:45], v[95:96], v[44:45], -v[46:47]
	v_add_f64 v[48:49], v[2:3], v[40:41]
	v_add_f64 v[93:94], v[61:62], -v[63:64]
	v_add_f64 v[95:96], v[55:56], v[61:62]
	v_add_f64 v[61:62], v[61:62], v[63:64]
	;; [unrolled: 1-line block ×4, first 2 shown]
	v_add_f64 v[36:37], v[36:37], -v[42:43]
	v_add_f64 v[109:110], v[69:70], -v[75:76]
	v_add_f64 v[111:112], v[71:72], v[69:70]
	v_add_f64 v[69:70], v[69:70], v[75:76]
	v_fma_f64 v[57:58], v[67:68], -0.5, v[57:58]
	v_add_f64 v[46:47], v[16:17], v[2:3]
	v_add_f64 v[105:106], v[8:9], v[38:39]
	;; [unrolled: 1-line block ×3, first 2 shown]
	v_add_f64 v[38:39], v[38:39], -v[32:33]
	v_fma_f64 v[16:17], v[48:49], -0.5, v[16:17]
	v_fma_f64 v[48:49], v[61:62], -0.5, v[55:56]
	;; [unrolled: 1-line block ×3, first 2 shown]
	v_fma_f64 v[67:68], v[36:37], s[6:7], v[57:58]
	v_fma_f64 v[69:70], v[36:37], s[4:5], v[57:58]
	v_add_f64 v[57:58], v[10:11], v[28:29]
	v_add_f64 v[113:114], v[28:29], v[34:35]
	;; [unrolled: 1-line block ×4, first 2 shown]
	v_add_f64 v[2:3], v[2:3], -v[40:41]
	v_add_f64 v[40:41], v[46:47], v[40:41]
	v_add_f64 v[46:47], v[95:96], v[63:64]
	v_fma_f64 v[63:64], v[93:94], s[4:5], v[16:17]
	v_fma_f64 v[16:17], v[93:94], s[6:7], v[16:17]
	v_add_f64 v[93:94], v[79:80], -v[77:78]
	v_fma_f64 v[95:96], v[38:39], s[6:7], v[61:62]
	v_add_f64 v[79:80], v[73:74], v[79:80]
	v_fma_f64 v[61:62], v[38:39], s[4:5], v[61:62]
	v_add_f64 v[38:39], v[57:58], v[34:35]
	v_add_f64 v[57:58], v[30:31], v[24:25]
	v_fma_f64 v[10:11], v[113:114], -0.5, v[10:11]
	v_fma_f64 v[73:74], v[75:76], -0.5, v[73:74]
	v_add_f64 v[28:29], v[28:29], -v[34:35]
	v_add_f64 v[42:43], v[97:98], v[42:43]
	v_add_f64 v[75:76], v[79:80], v[77:78]
	;; [unrolled: 1-line block ×4, first 2 shown]
	v_fma_f64 v[4:5], v[57:58], -0.5, v[4:5]
	v_add_f64 v[57:58], v[81:82], -v[87:88]
	v_add_f64 v[97:98], v[20:21], v[26:27]
	v_fma_f64 v[34:35], v[93:94], s[4:5], v[10:11]
	v_fma_f64 v[10:11], v[93:94], s[6:7], v[10:11]
	;; [unrolled: 1-line block ×4, first 2 shown]
	v_add_f64 v[28:29], v[83:84], v[81:82]
	v_fma_f64 v[77:78], v[77:78], -0.5, v[83:84]
	v_add_f64 v[30:31], v[30:31], -v[24:25]
	v_add_f64 v[24:25], v[79:80], v[24:25]
	v_fma_f64 v[79:80], v[57:58], s[4:5], v[4:5]
	v_add_f64 v[81:82], v[6:7], v[20:21]
	v_fma_f64 v[6:7], v[97:98], -0.5, v[6:7]
	v_add_f64 v[83:84], v[91:92], -v[89:90]
	v_fma_f64 v[4:5], v[57:58], s[6:7], v[4:5]
	v_add_f64 v[57:58], v[22:23], v[14:15]
	v_add_f64 v[87:88], v[28:29], v[87:88]
	;; [unrolled: 1-line block ×3, first 2 shown]
	v_fma_f64 v[18:19], v[99:100], -0.5, v[18:19]
	v_fma_f64 v[97:98], v[30:31], s[6:7], v[77:78]
	v_fma_f64 v[77:78], v[30:31], s[4:5], v[77:78]
	v_add_f64 v[30:31], v[81:82], v[26:27]
	v_fma_f64 v[81:82], v[83:84], s[4:5], v[6:7]
	v_fma_f64 v[6:7], v[83:84], s[6:7], v[6:7]
	v_add_f64 v[83:84], v[12:13], v[44:45]
	v_add_f64 v[20:21], v[20:21], -v[26:27]
	v_add_f64 v[26:27], v[0:1], v[22:23]
	v_fma_f64 v[0:1], v[57:58], -0.5, v[0:1]
	v_add_f64 v[57:58], v[12:13], -v[44:45]
	v_add_f64 v[12:13], v[59:60], v[12:13]
	v_add_f64 v[91:92], v[85:86], v[91:92]
	v_fma_f64 v[28:29], v[28:29], -0.5, v[85:86]
	v_fma_f64 v[8:9], v[107:108], -0.5, v[8:9]
	v_add_f64 v[55:56], v[103:104], v[65:66]
	v_fma_f64 v[65:66], v[2:3], s[6:7], v[48:49]
	v_fma_f64 v[48:49], v[2:3], s[4:5], v[48:49]
	;; [unrolled: 1-line block ×4, first 2 shown]
	v_add_f64 v[44:45], v[12:13], v[44:45]
	v_lshrrev_b32_e32 v12, 3, v124
	v_mul_u32_u24_e32 v12, 24, v12
	v_or_b32_e32 v12, v12, v123
	v_fma_f64 v[59:60], v[83:84], -0.5, v[59:60]
	v_add_f64 v[83:84], v[91:92], v[89:90]
	v_fma_f64 v[85:86], v[20:21], s[6:7], v[28:29]
	v_fma_f64 v[89:90], v[20:21], s[4:5], v[28:29]
	;; [unrolled: 1-line block ×4, first 2 shown]
	v_lshl_add_u32 v57, v12, 3, 0
	v_lshrrev_b32_e32 v12, 3, v134
	v_add_f64 v[32:33], v[105:106], v[32:33]
	v_fma_f64 v[36:37], v[109:110], s[4:5], v[8:9]
	v_mul_u32_u24_e32 v12, 24, v12
	v_fma_f64 v[8:9], v[109:110], s[6:7], v[8:9]
	v_or_b32_e32 v12, v12, v123
	ds_write2_b64 v57, v[40:41], v[63:64] offset1:8
	ds_write_b64 v57, v[16:17] offset:128
	v_lshl_add_u32 v63, v12, 3, 0
	v_lshrrev_b32_e32 v58, 3, v133
	ds_write2_b64 v63, v[42:43], v[2:3] offset1:8
	ds_write_b64 v63, v[18:19] offset:128
	v_mul_u32_u24_e32 v2, 24, v58
	v_or_b32_e32 v2, v2, v123
	v_lshl_add_u32 v64, v2, 3, 0
	v_lshrrev_b32_e32 v2, 3, v135
	v_mul_u32_u24_e32 v2, 24, v2
	v_or_b32_e32 v2, v2, v123
	ds_write2_b64 v64, v[32:33], v[36:37] offset1:8
	ds_write_b64 v64, v[8:9] offset:128
	v_lshl_add_u32 v8, v2, 3, 0
	v_lshrrev_b32_e32 v2, 3, v136
	v_add_f64 v[22:23], v[22:23], -v[14:15]
	v_mul_u32_u24_e32 v2, 24, v2
	v_add_f64 v[14:15], v[26:27], v[14:15]
	v_or_b32_e32 v2, v2, v123
	v_lshl_add_u32 v9, v2, 3, 0
	v_lshrrev_b32_e32 v2, 3, v137
	v_mul_u32_u24_e32 v2, 24, v2
	v_or_b32_e32 v2, v2, v123
	ds_write2_b64 v8, v[38:39], v[34:35] offset1:8
	ds_write_b64 v8, v[10:11] offset:128
	v_lshl_add_u32 v10, v2, 3, 0
	v_lshrrev_b32_e32 v2, 3, v138
	v_mul_u32_u24_e32 v2, 24, v2
	v_or_b32_e32 v2, v2, v123
	v_fma_f64 v[91:92], v[22:23], s[6:7], v[59:60]
	v_fma_f64 v[59:60], v[22:23], s[4:5], v[59:60]
	v_lshl_add_u32 v11, v2, 3, 0
	s_movk_i32 s4, 0xab
	ds_write2_b64 v9, v[24:25], v[79:80] offset1:8
	ds_write_b64 v9, v[4:5] offset:128
	ds_write2_b64 v10, v[30:31], v[81:82] offset1:8
	ds_write_b64 v10, v[6:7] offset:128
	;; [unrolled: 2-line block ×3, first 2 shown]
	s_waitcnt lgkmcnt(0)
	; wave barrier
	s_waitcnt lgkmcnt(0)
	ds_read2_b64 v[4:7], v125 offset1:56
	ds_read2_b64 v[0:3], v125 offset0:112 offset1:168
	ds_read2_b64 v[12:15], v50 offset0:80 offset1:136
	;; [unrolled: 1-line block ×9, first 2 shown]
	ds_read_b64 v[170:171], v125 offset:8960
	s_waitcnt lgkmcnt(0)
	; wave barrier
	s_waitcnt lgkmcnt(0)
	ds_write2_b64 v57, v[46:47], v[65:66] offset1:8
	ds_write_b64 v57, v[48:49] offset:128
	ds_write2_b64 v63, v[55:56], v[67:68] offset1:8
	ds_write_b64 v63, v[69:70] offset:128
	;; [unrolled: 2-line block ×7, first 2 shown]
	v_mul_lo_u16_sdwa v8, v124, s4 dst_sel:DWORD dst_unused:UNUSED_PAD src0_sel:BYTE_0 src1_sel:DWORD
	v_lshrrev_b16_e32 v8, 12, v8
	v_mul_lo_u16_e32 v9, 24, v8
	v_sub_u16_e32 v9, v124, v9
	v_mov_b32_e32 v48, 6
	v_mul_u32_u24_sdwa v10, v9, v48 dst_sel:DWORD dst_unused:UNUSED_PAD src0_sel:BYTE_0 src1_sel:DWORD
	v_lshlrev_b32_e32 v10, 4, v10
	s_waitcnt lgkmcnt(0)
	; wave barrier
	s_waitcnt lgkmcnt(0)
	global_load_dwordx4 v[44:47], v10, s[8:9] offset:352
	global_load_dwordx4 v[59:62], v10, s[8:9] offset:368
	;; [unrolled: 1-line block ×6, first 2 shown]
	v_mul_lo_u16_sdwa v10, v134, s4 dst_sel:DWORD dst_unused:UNUSED_PAD src0_sel:BYTE_0 src1_sel:DWORD
	v_lshrrev_b16_e32 v10, 12, v10
	v_mul_lo_u16_e32 v11, 24, v10
	v_sub_u16_e32 v11, v134, v11
	v_mul_u32_u24_sdwa v49, v11, v48 dst_sel:DWORD dst_unused:UNUSED_PAD src0_sel:BYTE_0 src1_sel:DWORD
	v_lshlrev_b32_e32 v49, 4, v49
	global_load_dwordx4 v[79:82], v49, s[8:9] offset:352
	global_load_dwordx4 v[83:86], v49, s[8:9] offset:368
	;; [unrolled: 1-line block ×6, first 2 shown]
	v_mul_lo_u16_sdwa v49, v133, s4 dst_sel:DWORD dst_unused:UNUSED_PAD src0_sel:BYTE_0 src1_sel:DWORD
	v_lshrrev_b16_e32 v123, 12, v49
	v_mul_lo_u16_e32 v49, 24, v123
	v_sub_u16_e32 v132, v133, v49
	v_mul_u32_u24_sdwa v48, v132, v48 dst_sel:DWORD dst_unused:UNUSED_PAD src0_sel:BYTE_0 src1_sel:DWORD
	v_lshlrev_b32_e32 v48, 4, v48
	global_load_dwordx4 v[103:106], v48, s[8:9] offset:352
	global_load_dwordx4 v[107:110], v48, s[8:9] offset:368
	;; [unrolled: 1-line block ×6, first 2 shown]
	ds_read2_b64 v[134:137], v125 offset0:112 offset1:168
	ds_read2_b64 v[138:141], v125 offset1:56
	ds_read2_b64 v[142:145], v50 offset0:80 offset1:136
	ds_read2_b64 v[146:149], v50 offset0:192 offset1:248
	;; [unrolled: 1-line block ×3, first 2 shown]
	s_mov_b32 s6, 0x37e14327
	s_mov_b32 s4, 0x429ad128
	;; [unrolled: 1-line block ×4, first 2 shown]
	v_mul_u32_u24_e32 v8, 0x540, v8
	s_waitcnt vmcnt(17) lgkmcnt(4)
	v_mul_f64 v[55:56], v[136:137], v[46:47]
	v_mul_f64 v[172:173], v[2:3], v[46:47]
	ds_read2_b64 v[46:49], v52 offset0:16 offset1:72
	ds_read2_b64 v[154:157], v54 offset0:112 offset1:168
	;; [unrolled: 1-line block ×5, first 2 shown]
	ds_read_b64 v[174:175], v125 offset:8960
	s_waitcnt vmcnt(13) lgkmcnt(0)
	v_mul_f64 v[176:177], v[48:49], v[73:74]
	v_mul_f64 v[73:74], v[26:27], v[73:74]
	; wave barrier
	v_fma_f64 v[2:3], v[2:3], v[44:45], v[55:56]
	v_fma_f64 v[44:45], v[136:137], v[44:45], -v[172:173]
	v_mul_f64 v[55:56], v[142:143], v[61:62]
	v_mul_f64 v[61:62], v[12:13], v[61:62]
	;; [unrolled: 1-line block ×6, first 2 shown]
	v_fma_f64 v[26:27], v[26:27], v[71:72], v[176:177]
	v_fma_f64 v[48:49], v[48:49], v[71:72], -v[73:74]
	v_fma_f64 v[12:13], v[12:13], v[59:60], v[55:56]
	v_fma_f64 v[55:56], v[142:143], v[59:60], -v[61:62]
	;; [unrolled: 2-line block ×3, first 2 shown]
	s_waitcnt vmcnt(11)
	v_mul_f64 v[67:68], v[158:159], v[81:82]
	s_waitcnt vmcnt(10)
	v_mul_f64 v[71:72], v[144:145], v[85:86]
	v_mul_f64 v[73:74], v[14:15], v[85:86]
	v_fma_f64 v[18:19], v[18:19], v[63:64], v[136:137]
	v_fma_f64 v[59:60], v[148:149], v[63:64], -v[65:66]
	v_mul_f64 v[63:64], v[154:155], v[77:78]
	v_mul_f64 v[65:66], v[28:29], v[77:78]
	;; [unrolled: 1-line block ×3, first 2 shown]
	v_fma_f64 v[32:33], v[32:33], v[79:80], v[67:68]
	v_fma_f64 v[14:15], v[14:15], v[83:84], v[71:72]
	v_fma_f64 v[67:68], v[144:145], v[83:84], -v[73:74]
	s_waitcnt vmcnt(8)
	v_mul_f64 v[71:72], v[152:153], v[93:94]
	v_mul_f64 v[73:74], v[22:23], v[93:94]
	;; [unrolled: 1-line block ×4, first 2 shown]
	v_fma_f64 v[28:29], v[28:29], v[75:76], v[63:64]
	v_fma_f64 v[63:64], v[154:155], v[75:76], -v[65:66]
	s_waitcnt vmcnt(2)
	v_mul_f64 v[89:90], v[24:25], v[117:118]
	v_fma_f64 v[65:66], v[158:159], v[79:80], -v[69:70]
	v_fma_f64 v[22:23], v[22:23], v[91:92], v[71:72]
	v_fma_f64 v[71:72], v[152:153], v[91:92], -v[73:74]
	s_waitcnt vmcnt(1)
	v_mul_f64 v[91:92], v[168:169], v[121:122]
	v_fma_f64 v[36:37], v[36:37], v[87:88], v[77:78]
	v_fma_f64 v[69:70], v[162:163], v[87:88], -v[81:82]
	v_mul_f64 v[83:84], v[160:161], v[105:106]
	v_mul_f64 v[87:88], v[46:47], v[117:118]
	;; [unrolled: 1-line block ×3, first 2 shown]
	v_fma_f64 v[46:47], v[46:47], v[115:116], -v[89:90]
	v_add_f64 v[89:90], v[2:3], v[28:29]
	v_fma_f64 v[42:43], v[42:43], v[119:120], v[91:92]
	v_add_f64 v[91:92], v[44:45], v[63:64]
	v_add_f64 v[2:3], v[2:3], -v[28:29]
	v_add_f64 v[28:29], v[44:45], -v[63:64]
	v_add_f64 v[44:45], v[12:13], v[26:27]
	v_add_f64 v[63:64], v[55:56], v[48:49]
	v_mul_f64 v[75:76], v[166:167], v[101:102]
	v_mul_f64 v[77:78], v[40:41], v[101:102]
	;; [unrolled: 1-line block ×5, first 2 shown]
	v_fma_f64 v[34:35], v[34:35], v[103:104], v[83:84]
	v_mul_f64 v[83:84], v[164:165], v[113:114]
	v_add_f64 v[12:13], v[12:13], -v[26:27]
	v_add_f64 v[26:27], v[55:56], -v[48:49]
	v_add_f64 v[48:49], v[18:19], v[20:21]
	v_add_f64 v[55:56], v[59:60], v[61:62]
	v_add_f64 v[18:19], v[20:21], -v[18:19]
	v_add_f64 v[20:21], v[61:62], -v[59:60]
	v_add_f64 v[59:60], v[44:45], v[89:90]
	v_add_f64 v[61:62], v[63:64], v[91:92]
	v_fma_f64 v[40:41], v[40:41], v[99:100], v[75:76]
	v_fma_f64 v[73:74], v[166:167], v[99:100], -v[77:78]
	v_fma_f64 v[30:31], v[30:31], v[95:96], v[79:80]
	v_fma_f64 v[75:76], v[156:157], v[95:96], -v[81:82]
	v_fma_f64 v[77:78], v[160:161], v[103:104], -v[85:86]
	v_mul_f64 v[85:86], v[38:39], v[113:114]
	v_fma_f64 v[38:39], v[38:39], v[111:112], v[83:84]
	v_fma_f64 v[83:84], v[168:169], v[119:120], -v[93:94]
	v_add_f64 v[93:94], v[44:45], -v[89:90]
	v_add_f64 v[95:96], v[63:64], -v[91:92]
	;; [unrolled: 1-line block ×6, first 2 shown]
	v_add_f64 v[97:98], v[18:19], v[12:13]
	v_add_f64 v[99:100], v[20:21], v[26:27]
	v_add_f64 v[101:102], v[18:19], -v[12:13]
	v_add_f64 v[103:104], v[20:21], -v[26:27]
	v_add_f64 v[48:49], v[48:49], v[59:60]
	v_add_f64 v[55:56], v[55:56], v[61:62]
	v_add_f64 v[12:13], v[12:13], -v[2:3]
	v_add_f64 v[26:27], v[26:27], -v[28:29]
	;; [unrolled: 1-line block ×4, first 2 shown]
	v_add_f64 v[2:3], v[97:98], v[2:3]
	v_add_f64 v[28:29], v[99:100], v[28:29]
	v_add_f64 v[4:5], v[4:5], v[48:49]
	v_add_f64 v[59:60], v[138:139], v[55:56]
	v_mul_f64 v[61:62], v[89:90], s[6:7]
	v_mul_f64 v[89:90], v[91:92], s[6:7]
	;; [unrolled: 1-line block ×8, first 2 shown]
	v_fma_f64 v[48:49], v[48:49], s[20:21], v[4:5]
	v_fma_f64 v[55:56], v[55:56], s[20:21], v[59:60]
	;; [unrolled: 1-line block ×4, first 2 shown]
	v_fma_f64 v[91:92], v[93:94], s[10:11], -v[91:92]
	v_fma_f64 v[97:98], v[95:96], s[10:11], -v[97:98]
	;; [unrolled: 1-line block ×4, first 2 shown]
	v_fma_f64 v[93:94], v[18:19], s[24:25], v[99:100]
	v_fma_f64 v[95:96], v[20:21], s[24:25], v[101:102]
	v_fma_f64 v[12:13], v[12:13], s[4:5], -v[99:100]
	v_fma_f64 v[26:27], v[26:27], s[4:5], -v[101:102]
	;; [unrolled: 1-line block ×4, first 2 shown]
	v_add_f64 v[44:45], v[44:45], v[48:49]
	v_add_f64 v[63:64], v[63:64], v[55:56]
	;; [unrolled: 1-line block ×6, first 2 shown]
	v_fma_f64 v[89:90], v[2:3], s[14:15], v[93:94]
	v_fma_f64 v[20:21], v[28:29], s[14:15], v[20:21]
	;; [unrolled: 1-line block ×6, first 2 shown]
	v_mul_f64 v[79:80], v[146:147], v[109:110]
	v_mul_f64 v[81:82], v[16:17], v[109:110]
	v_fma_f64 v[24:25], v[24:25], v[115:116], v[87:88]
	v_add_f64 v[93:94], v[20:21], v[48:49]
	v_add_f64 v[95:96], v[55:56], -v[18:19]
	v_add_f64 v[99:100], v[91:92], -v[26:27]
	v_add_f64 v[101:102], v[2:3], v[97:98]
	v_add_f64 v[26:27], v[26:27], v[91:92]
	v_add_f64 v[91:92], v[97:98], -v[2:3]
	v_add_f64 v[2:3], v[48:49], -v[20:21]
	v_add_f64 v[56:57], v[18:19], v[55:56]
	v_add_f64 v[18:19], v[32:33], v[30:31]
	;; [unrolled: 1-line block ×3, first 2 shown]
	v_add_f64 v[30:31], v[32:33], -v[30:31]
	v_add_f64 v[32:33], v[65:66], -v[75:76]
	v_add_f64 v[48:49], v[14:15], v[40:41]
	v_add_f64 v[65:66], v[67:68], v[73:74]
	v_add_f64 v[14:15], v[14:15], -v[40:41]
	v_add_f64 v[40:41], v[67:68], -v[73:74]
	v_add_f64 v[67:68], v[36:37], v[22:23]
	v_add_f64 v[73:74], v[69:70], v[71:72]
	;; [unrolled: 4-line block ×3, first 2 shown]
	v_fma_f64 v[16:17], v[16:17], v[107:108], v[79:80]
	v_fma_f64 v[79:80], v[146:147], v[107:108], -v[81:82]
	v_add_f64 v[75:76], v[48:49], -v[18:19]
	v_add_f64 v[97:98], v[65:66], -v[20:21]
	;; [unrolled: 1-line block ×6, first 2 shown]
	v_add_f64 v[103:104], v[22:23], v[14:15]
	v_add_f64 v[105:106], v[36:37], v[40:41]
	v_add_f64 v[107:108], v[22:23], -v[14:15]
	v_add_f64 v[109:110], v[36:37], -v[40:41]
	v_add_f64 v[67:68], v[67:68], v[69:70]
	v_add_f64 v[69:70], v[73:74], v[71:72]
	v_add_f64 v[14:15], v[14:15], -v[30:31]
	v_add_f64 v[40:41], v[40:41], -v[32:33]
	v_fma_f64 v[81:82], v[164:165], v[111:112], -v[85:86]
	v_add_f64 v[22:23], v[30:31], -v[22:23]
	v_add_f64 v[36:37], v[32:33], -v[36:37]
	v_add_f64 v[30:31], v[103:104], v[30:31]
	v_add_f64 v[32:33], v[105:106], v[32:33]
	;; [unrolled: 1-line block ×4, first 2 shown]
	v_mul_f64 v[18:19], v[18:19], s[6:7]
	v_mul_f64 v[20:21], v[20:21], s[6:7]
	;; [unrolled: 1-line block ×8, first 2 shown]
	s_waitcnt vmcnt(0)
	v_mul_f64 v[85:86], v[174:175], v[130:131]
	v_mul_f64 v[87:88], v[170:171], v[130:131]
	v_fma_f64 v[67:68], v[67:68], s[20:21], v[6:7]
	v_fma_f64 v[69:70], v[69:70], s[20:21], v[71:72]
	;; [unrolled: 1-line block ×4, first 2 shown]
	v_fma_f64 v[73:74], v[75:76], s[10:11], -v[73:74]
	v_fma_f64 v[103:104], v[97:98], s[10:11], -v[103:104]
	;; [unrolled: 1-line block ×4, first 2 shown]
	v_fma_f64 v[75:76], v[22:23], s[24:25], v[105:106]
	v_fma_f64 v[97:98], v[36:37], s[24:25], v[107:108]
	v_fma_f64 v[14:15], v[14:15], s[4:5], -v[105:106]
	v_fma_f64 v[40:41], v[40:41], s[4:5], -v[107:108]
	v_fma_f64 v[22:23], v[22:23], s[22:23], -v[109:110]
	v_fma_f64 v[36:37], v[36:37], s[22:23], -v[111:112]
	v_fma_f64 v[12:13], v[170:171], v[128:129], v[85:86]
	v_fma_f64 v[28:29], v[174:175], v[128:129], -v[87:88]
	v_add_f64 v[48:49], v[48:49], v[67:68]
	v_add_f64 v[73:74], v[73:74], v[67:68]
	;; [unrolled: 1-line block ×5, first 2 shown]
	v_fma_f64 v[67:68], v[32:33], s[14:15], v[97:98]
	v_fma_f64 v[36:37], v[32:33], s[14:15], v[36:37]
	;; [unrolled: 1-line block ×5, first 2 shown]
	v_add_f64 v[87:88], v[63:64], -v[89:90]
	v_add_f64 v[65:66], v[65:66], v[69:70]
	v_fma_f64 v[69:70], v[30:31], s[14:15], v[75:76]
	v_add_f64 v[40:41], v[89:90], v[63:64]
	v_add_f64 v[63:64], v[36:37], v[18:19]
	v_add_f64 v[75:76], v[20:21], -v[22:23]
	v_add_f64 v[89:90], v[73:74], -v[32:33]
	v_add_f64 v[97:98], v[14:15], v[103:104]
	v_add_f64 v[32:33], v[32:33], v[73:74]
	v_add_f64 v[73:74], v[103:104], -v[14:15]
	v_add_f64 v[14:15], v[18:19], -v[36:37]
	v_add_f64 v[36:37], v[22:23], v[20:21]
	v_add_f64 v[18:19], v[34:35], v[12:13]
	;; [unrolled: 1-line block ×3, first 2 shown]
	v_add_f64 v[22:23], v[77:78], -v[28:29]
	v_add_f64 v[28:29], v[16:17], v[42:43]
	v_add_f64 v[12:13], v[34:35], -v[12:13]
	v_add_f64 v[34:35], v[79:80], v[83:84]
	v_add_f64 v[16:17], v[16:17], -v[42:43]
	v_add_f64 v[42:43], v[79:80], -v[83:84]
	v_add_f64 v[77:78], v[38:39], v[24:25]
	v_add_f64 v[79:80], v[81:82], v[46:47]
	v_add_f64 v[24:25], v[24:25], -v[38:39]
	v_add_f64 v[38:39], v[46:47], -v[81:82]
	v_add_f64 v[46:47], v[28:29], v[18:19]
	v_add_f64 v[81:82], v[34:35], v[20:21]
	v_add_f64 v[83:84], v[28:29], -v[18:19]
	v_add_f64 v[103:104], v[34:35], -v[20:21]
	;; [unrolled: 1-line block ×6, first 2 shown]
	v_add_f64 v[105:106], v[24:25], v[16:17]
	v_add_f64 v[107:108], v[38:39], v[42:43]
	v_add_f64 v[109:110], v[24:25], -v[16:17]
	v_add_f64 v[111:112], v[38:39], -v[42:43]
	v_add_f64 v[46:47], v[77:78], v[46:47]
	v_add_f64 v[42:43], v[42:43], -v[22:23]
	v_add_f64 v[77:78], v[79:80], v[81:82]
	v_add_f64 v[16:17], v[16:17], -v[12:13]
	v_add_f64 v[24:25], v[12:13], -v[24:25]
	;; [unrolled: 1-line block ×3, first 2 shown]
	v_add_f64 v[12:13], v[105:106], v[12:13]
	v_add_f64 v[22:23], v[107:108], v[22:23]
	;; [unrolled: 1-line block ×3, first 2 shown]
	v_mul_f64 v[18:19], v[18:19], s[6:7]
	v_mul_f64 v[20:21], v[20:21], s[6:7]
	;; [unrolled: 1-line block ×7, first 2 shown]
	v_add_f64 v[79:80], v[134:135], v[77:78]
	v_mul_f64 v[111:112], v[16:17], s[4:5]
	v_fma_f64 v[46:47], v[46:47], s[20:21], v[0:1]
	v_fma_f64 v[28:29], v[28:29], s[16:17], v[18:19]
	;; [unrolled: 1-line block ×3, first 2 shown]
	v_fma_f64 v[81:82], v[83:84], s[10:11], -v[81:82]
	v_fma_f64 v[105:106], v[103:104], s[10:11], -v[105:106]
	;; [unrolled: 1-line block ×4, first 2 shown]
	v_fma_f64 v[103:104], v[38:39], s[24:25], v[109:110]
	v_fma_f64 v[42:43], v[42:43], s[4:5], -v[109:110]
	v_fma_f64 v[38:39], v[38:39], s[22:23], -v[113:114]
	v_fma_f64 v[77:78], v[77:78], s[20:21], v[79:80]
	v_fma_f64 v[83:84], v[24:25], s[24:25], v[107:108]
	v_fma_f64 v[16:17], v[16:17], s[4:5], -v[107:108]
	v_fma_f64 v[24:25], v[24:25], s[22:23], -v[111:112]
	v_add_f64 v[28:29], v[28:29], v[46:47]
	v_add_f64 v[81:82], v[81:82], v[46:47]
	;; [unrolled: 1-line block ×3, first 2 shown]
	v_fma_f64 v[46:47], v[22:23], s[14:15], v[103:104]
	v_fma_f64 v[38:39], v[22:23], s[14:15], v[38:39]
	;; [unrolled: 1-line block ×3, first 2 shown]
	v_add_f64 v[34:35], v[34:35], v[77:78]
	v_add_f64 v[105:106], v[105:106], v[77:78]
	;; [unrolled: 1-line block ×3, first 2 shown]
	v_fma_f64 v[77:78], v[12:13], s[14:15], v[83:84]
	v_fma_f64 v[24:25], v[12:13], s[14:15], v[24:25]
	;; [unrolled: 1-line block ×3, first 2 shown]
	v_add_f64 v[85:86], v[61:62], v[44:45]
	v_add_f64 v[30:31], v[44:45], -v[61:62]
	v_add_f64 v[44:45], v[67:68], v[48:49]
	v_add_f64 v[16:17], v[48:49], -v[67:68]
	v_add_f64 v[48:49], v[46:47], v[28:29]
	v_add_f64 v[67:68], v[38:39], v[18:19]
	v_add_f64 v[83:84], v[81:82], -v[22:23]
	v_add_f64 v[61:62], v[65:66], -v[69:70]
	v_add_f64 v[42:43], v[69:70], v[65:66]
	v_add_f64 v[69:70], v[20:21], -v[24:25]
	v_add_f64 v[103:104], v[12:13], v[105:106]
	v_add_f64 v[22:23], v[22:23], v[81:82]
	v_add_f64 v[81:82], v[105:106], -v[12:13]
	v_add_f64 v[12:13], v[18:19], -v[38:39]
	v_add_f64 v[38:39], v[24:25], v[20:21]
	v_mov_b32_e32 v20, 3
	v_add_f64 v[18:19], v[28:29], -v[46:47]
	v_lshlrev_b32_sdwa v9, v20, v9 dst_sel:DWORD dst_unused:UNUSED_PAD src0_sel:DWORD src1_sel:BYTE_0
	v_add_f64 v[65:66], v[34:35], -v[77:78]
	v_add_f64 v[34:35], v[77:78], v[34:35]
	v_add3_u32 v77, 0, v8, v9
	ds_write2_b64 v77, v[4:5], v[85:86] offset1:24
	ds_write2_b64 v77, v[93:94], v[99:100] offset0:48 offset1:72
	ds_write2_b64 v77, v[26:27], v[2:3] offset0:96 offset1:120
	ds_write_b64 v77, v[30:31] offset:1152
	v_mul_u32_u24_e32 v2, 0x540, v10
	v_lshlrev_b32_sdwa v3, v20, v11 dst_sel:DWORD dst_unused:UNUSED_PAD src0_sel:DWORD src1_sel:BYTE_0
	v_add3_u32 v30, 0, v2, v3
	v_mul_u32_u24_e32 v2, 0x540, v123
	v_lshlrev_b32_sdwa v3, v20, v132 dst_sel:DWORD dst_unused:UNUSED_PAD src0_sel:DWORD src1_sel:BYTE_0
	v_add3_u32 v31, 0, v2, v3
	ds_write2_b64 v30, v[6:7], v[44:45] offset1:24
	ds_write2_b64 v30, v[63:64], v[89:90] offset0:48 offset1:72
	ds_write2_b64 v30, v[32:33], v[14:15] offset0:96 offset1:120
	ds_write_b64 v30, v[16:17] offset:1152
	ds_write2_b64 v31, v[0:1], v[48:49] offset1:24
	ds_write2_b64 v31, v[67:68], v[83:84] offset0:48 offset1:72
	ds_write2_b64 v31, v[22:23], v[12:13] offset0:96 offset1:120
	ds_write_b64 v31, v[18:19] offset:1152
	s_waitcnt lgkmcnt(0)
	; wave barrier
	s_waitcnt lgkmcnt(0)
	ds_read2_b64 v[0:3], v125 offset1:56
	ds_read2_b64 v[4:7], v125 offset0:112 offset1:168
	ds_read2_b64 v[20:23], v50 offset0:80 offset1:136
	;; [unrolled: 1-line block ×9, first 2 shown]
	ds_read_b64 v[28:29], v125 offset:8960
	s_waitcnt lgkmcnt(0)
	; wave barrier
	s_waitcnt lgkmcnt(0)
	ds_write2_b64 v77, v[59:60], v[87:88] offset1:24
	ds_write2_b64 v77, v[95:96], v[101:102] offset0:48 offset1:72
	ds_write2_b64 v77, v[91:92], v[56:57] offset0:96 offset1:120
	ds_write_b64 v77, v[40:41] offset:1152
	ds_write2_b64 v30, v[71:72], v[61:62] offset1:24
	ds_write2_b64 v30, v[75:76], v[97:98] offset0:48 offset1:72
	ds_write2_b64 v30, v[73:74], v[36:37] offset0:96 offset1:120
	ds_write_b64 v30, v[42:43] offset:1152
	;; [unrolled: 4-line block ×3, first 2 shown]
	s_waitcnt lgkmcnt(0)
	; wave barrier
	s_waitcnt lgkmcnt(0)
	s_and_saveexec_b64 s[26:27], s[0:1]
	s_cbranch_execz .LBB0_37
; %bb.36:
	v_mul_u32_u24_e32 v30, 6, v133
	v_lshlrev_b32_e32 v42, 4, v30
	global_load_dwordx4 v[30:33], v42, s[8:9] offset:2704
	global_load_dwordx4 v[34:37], v42, s[8:9] offset:2688
	;; [unrolled: 1-line block ×6, first 2 shown]
	v_mov_b32_e32 v42, 0xfffffeb0
	v_mad_u32_u24 v56, v133, 6, v42
	v_mov_b32_e32 v57, 0
	v_lshlrev_b64 v[42:43], 4, v[56:57]
	v_mov_b32_e32 v56, s9
	v_add_co_u32_e32 v42, vcc, s8, v42
	v_addc_co_u32_e32 v43, vcc, v56, v43, vcc
	global_load_dwordx4 v[71:74], v[42:43], off offset:2656
	global_load_dwordx4 v[75:78], v[42:43], off offset:2736
	;; [unrolled: 1-line block ×6, first 2 shown]
	ds_read_b64 v[42:43], v125 offset:8960
	v_add_u32_e32 v56, 0x400, v125
	v_add_u32_e32 v115, 0x1800, v125
	;; [unrolled: 1-line block ×5, first 2 shown]
	ds_read2_b64 v[95:98], v125 offset0:112 offset1:168
	ds_read2_b64 v[99:102], v56 offset0:96 offset1:152
	ds_read2_b64 v[103:106], v115 offset0:16 offset1:72
	ds_read2_b64 v[107:110], v123 offset0:48 offset1:104
	ds_read2_b64 v[111:114], v132 offset0:192 offset1:248
	ds_read2_b64 v[115:118], v115 offset0:128 offset1:184
	ds_read2_b64 v[119:122], v119 offset0:112 offset1:168
	ds_read2_b64 v[128:131], v123 offset0:160 offset1:216
	ds_read2_b64 v[132:135], v132 offset0:80 offset1:136
	s_movk_i32 s0, 0x1000
	s_movk_i32 s1, 0x2000
	s_waitcnt vmcnt(11) lgkmcnt(6)
	v_mul_f64 v[140:141], v[32:33], v[103:104]
	s_waitcnt vmcnt(10) lgkmcnt(5)
	v_mul_f64 v[142:143], v[36:37], v[109:110]
	;; [unrolled: 2-line block ×3, first 2 shown]
	s_waitcnt vmcnt(8)
	v_mul_f64 v[136:137], v[61:62], v[101:102]
	s_waitcnt vmcnt(7)
	v_mul_f64 v[138:139], v[65:66], v[42:43]
	s_waitcnt vmcnt(6) lgkmcnt(3)
	v_mul_f64 v[146:147], v[69:70], v[117:118]
	v_mul_f64 v[65:66], v[28:29], v[65:66]
	;; [unrolled: 1-line block ×7, first 2 shown]
	v_fma_f64 v[50:51], v[50:51], v[59:60], v[136:137]
	v_fma_f64 v[28:29], v[28:29], v[63:64], v[138:139]
	;; [unrolled: 1-line block ×6, first 2 shown]
	v_fma_f64 v[42:43], v[63:64], v[42:43], -v[65:66]
	v_fma_f64 v[59:60], v[59:60], v[101:102], -v[61:62]
	;; [unrolled: 1-line block ×6, first 2 shown]
	v_add_f64 v[32:33], v[50:51], -v[28:29]
	v_add_f64 v[36:37], v[24:25], -v[46:47]
	v_add_f64 v[40:41], v[16:17], -v[54:55]
	v_add_f64 v[67:68], v[59:60], v[42:43]
	v_add_f64 v[28:29], v[50:51], v[28:29]
	;; [unrolled: 1-line block ×4, first 2 shown]
	s_waitcnt vmcnt(5)
	v_mul_f64 v[148:149], v[73:74], v[99:100]
	v_mul_f64 v[65:66], v[48:49], v[73:74]
	v_add_f64 v[73:74], v[30:31], v[34:35]
	v_add_f64 v[24:25], v[24:25], v[46:47]
	v_add_f64 v[42:43], v[59:60], -v[42:43]
	v_add_f64 v[30:31], v[30:31], -v[34:35]
	;; [unrolled: 1-line block ×5, first 2 shown]
	v_add_f64 v[36:37], v[36:37], v[40:41]
	v_add_f64 v[50:51], v[67:68], v[69:70]
	;; [unrolled: 1-line block ×3, first 2 shown]
	s_waitcnt vmcnt(4) lgkmcnt(2)
	v_mul_f64 v[150:151], v[77:78], v[121:122]
	v_mul_f64 v[63:64], v[14:15], v[77:78]
	v_add_f64 v[54:55], v[67:68], -v[73:74]
	v_add_f64 v[59:60], v[73:74], -v[69:70]
	;; [unrolled: 1-line block ×6, first 2 shown]
	v_add_f64 v[30:31], v[30:31], v[34:35]
	v_add_f64 v[111:112], v[40:41], -v[32:33]
	v_add_f64 v[32:33], v[32:33], v[36:37]
	v_add_f64 v[36:37], v[73:74], v[50:51]
	;; [unrolled: 1-line block ×3, first 2 shown]
	v_add_f64 v[67:68], v[69:70], -v[67:68]
	v_add_f64 v[16:17], v[16:17], -v[28:29]
	;; [unrolled: 1-line block ×3, first 2 shown]
	v_mul_f64 v[34:35], v[46:47], s[18:19]
	v_mul_f64 v[46:47], v[54:55], s[6:7]
	;; [unrolled: 1-line block ×5, first 2 shown]
	v_add_f64 v[30:31], v[42:43], v[30:31]
	v_add_f64 v[42:43], v[95:96], v[36:37]
	;; [unrolled: 1-line block ×3, first 2 shown]
	s_waitcnt vmcnt(1) lgkmcnt(0)
	v_mul_f64 v[156:157], v[89:90], v[134:135]
	v_mul_f64 v[69:70], v[109:110], s[18:19]
	;; [unrolled: 1-line block ×4, first 2 shown]
	v_fma_f64 v[109:110], v[38:39], s[24:25], v[34:35]
	v_fma_f64 v[54:55], v[54:55], s[6:7], v[50:51]
	v_fma_f64 v[4:5], v[77:78], s[6:7], v[61:62]
	v_fma_f64 v[46:47], v[67:68], s[12:13], -v[46:47]
	v_fma_f64 v[59:60], v[16:17], s[12:13], -v[59:60]
	;; [unrolled: 1-line block ×5, first 2 shown]
	v_fma_f64 v[36:37], v[36:37], s[20:21], v[42:43]
	v_fma_f64 v[24:25], v[24:25], s[20:21], v[40:41]
	;; [unrolled: 1-line block ×3, first 2 shown]
	v_mul_f64 v[22:23], v[22:23], v[89:90]
	v_mul_f64 v[154:155], v[85:86], v[107:108]
	s_waitcnt vmcnt(0)
	v_mul_f64 v[158:159], v[93:94], v[115:116]
	v_fma_f64 v[77:78], v[103:104], s[24:25], v[69:70]
	v_fma_f64 v[38:39], v[38:39], s[22:23], -v[73:74]
	v_fma_f64 v[73:74], v[103:104], s[22:23], -v[101:102]
	v_fma_f64 v[95:96], v[32:33], s[14:15], v[109:110]
	v_fma_f64 v[61:62], v[32:33], s[14:15], v[34:35]
	v_add_f64 v[103:104], v[4:5], v[24:25]
	v_add_f64 v[4:5], v[46:47], v[36:37]
	;; [unrolled: 1-line block ×5, first 2 shown]
	v_mul_f64 v[24:25], v[52:53], v[93:94]
	v_fma_f64 v[87:88], v[87:88], v[134:135], -v[22:23]
	v_mul_u32_u24_e32 v22, 6, v124
	v_lshlrev_b32_e32 v56, 4, v22
	v_fma_f64 v[67:68], v[32:33], s[14:15], v[38:39]
	v_add_f64 v[101:102], v[54:55], v[36:37]
	v_fma_f64 v[136:137], v[44:45], v[83:84], v[154:155]
	v_add_f64 v[38:39], v[46:47], -v[61:62]
	v_fma_f64 v[140:141], v[52:53], v[91:92], v[158:159]
	v_fma_f64 v[121:122], v[75:76], v[121:122], -v[63:64]
	v_fma_f64 v[99:100], v[71:72], v[99:100], -v[65:66]
	v_add_f64 v[16:17], v[61:62], v[46:47]
	v_fma_f64 v[71:72], v[48:49], v[71:72], v[148:149]
	v_fma_f64 v[75:76], v[14:15], v[75:76], v[150:151]
	v_fma_f64 v[91:92], v[91:92], v[115:116], -v[24:25]
	v_mul_f64 v[14:15], v[44:45], v[85:86]
	global_load_dwordx4 v[22:25], v56, s[8:9] offset:2672
	global_load_dwordx4 v[44:47], v56, s[8:9] offset:2656
	;; [unrolled: 1-line block ×6, first 2 shown]
	v_mul_f64 v[152:153], v[81:82], v[130:131]
	v_fma_f64 v[28:29], v[28:29], s[4:5], -v[69:70]
	v_fma_f64 v[73:74], v[30:31], s[14:15], v[73:74]
	v_add_f64 v[142:143], v[99:100], v[121:122]
	v_add_f64 v[85:86], v[138:139], v[140:141]
	v_fma_f64 v[83:84], v[83:84], v[107:108], -v[14:15]
	v_add_f64 v[93:94], v[138:139], -v[140:141]
	v_add_f64 v[34:35], v[67:68], v[4:5]
	v_fma_f64 v[117:118], v[10:11], v[79:80], v[152:153]
	v_mul_f64 v[10:11], v[10:11], v[81:82]
	v_fma_f64 v[69:70], v[30:31], s[14:15], v[28:29]
	v_add_f64 v[81:82], v[87:88], v[91:92]
	v_add_f64 v[32:33], v[109:110], -v[73:74]
	v_add_f64 v[99:100], v[99:100], -v[121:122]
	v_fma_f64 v[77:78], v[30:31], s[14:15], v[77:78]
	v_add_f64 v[30:31], v[95:96], v[101:102]
	v_add_f64 v[89:90], v[117:118], -v[136:137]
	v_fma_f64 v[10:11], v[79:80], v[130:131], -v[10:11]
	v_add_f64 v[79:80], v[71:72], v[75:76]
	v_add_f64 v[36:37], v[69:70], v[111:112]
	v_add_f64 v[14:15], v[111:112], -v[69:70]
	v_add_f64 v[69:70], v[4:5], -v[67:68]
	v_add_f64 v[4:5], v[142:143], v[81:82]
	v_add_f64 v[67:68], v[73:74], v[109:110]
	;; [unrolled: 1-line block ×5, first 2 shown]
	v_add_f64 v[10:11], v[10:11], -v[83:84]
	v_add_f64 v[83:84], v[87:88], -v[91:92]
	;; [unrolled: 1-line block ×6, first 2 shown]
	v_add_f64 v[87:88], v[107:108], v[4:5]
	v_add_f64 v[91:92], v[107:108], -v[81:82]
	v_add_f64 v[109:110], v[111:112], v[109:110]
	v_add_f64 v[121:122], v[10:11], -v[83:84]
	v_add_f64 v[115:116], v[75:76], -v[89:90]
	v_mul_f64 v[117:118], v[71:72], s[18:19]
	ds_read2_b64 v[71:74], v125 offset1:56
	v_add_f64 v[89:90], v[89:90], v[93:94]
	v_add_f64 v[93:94], v[93:94], -v[75:76]
	v_mul_f64 v[91:92], v[91:92], s[16:17]
	v_add_f64 v[2:3], v[2:3], v[109:110]
	s_waitcnt lgkmcnt(0)
	v_add_f64 v[4:5], v[73:74], v[87:88]
	v_add_f64 v[73:74], v[142:143], -v[107:108]
	v_add_f64 v[107:108], v[79:80], -v[111:112]
	v_mul_f64 v[111:112], v[130:131], s[16:17]
	v_add_f64 v[130:131], v[99:100], -v[10:11]
	v_mul_f64 v[121:122], v[121:122], s[18:19]
	v_add_f64 v[10:11], v[10:11], v[83:84]
	v_fma_f64 v[109:110], v[109:110], s[20:21], v[2:3]
	v_fma_f64 v[87:88], v[87:88], s[20:21], v[4:5]
	;; [unrolled: 1-line block ×3, first 2 shown]
	v_add_f64 v[83:84], v[83:84], -v[99:100]
	v_fma_f64 v[138:139], v[107:108], s[6:7], v[111:112]
	v_mul_f64 v[144:145], v[73:74], s[6:7]
	v_fma_f64 v[140:141], v[130:131], s[24:25], v[121:122]
	v_add_f64 v[10:11], v[99:100], v[10:11]
	v_mul_f64 v[107:108], v[107:108], s[6:7]
	v_add_f64 v[81:82], v[81:82], -v[142:143]
	v_add_f64 v[99:100], v[136:137], v[87:88]
	v_add_f64 v[85:86], v[85:86], -v[79:80]
	v_add_f64 v[136:137], v[138:139], v[109:110]
	v_mul_f64 v[142:143], v[83:84], s[4:5]
	v_fma_f64 v[134:135], v[115:116], s[24:25], v[117:118]
	v_fma_f64 v[138:139], v[10:11], s[14:15], v[140:141]
	v_mul_f64 v[140:141], v[93:94], s[4:5]
	v_add_f64 v[89:90], v[75:76], v[89:90]
	v_add_f64 v[75:76], v[101:102], -v[95:96]
	v_add_f64 v[73:74], v[77:78], v[103:104]
	v_fma_f64 v[101:102], v[81:82], s[12:13], -v[144:145]
	v_fma_f64 v[103:104], v[85:86], s[12:13], -v[107:108]
	;; [unrolled: 1-line block ×8, first 2 shown]
	v_fma_f64 v[134:135], v[89:90], s[14:15], v[134:135]
	s_waitcnt vmcnt(0)
	v_mul_f64 v[111:112], v[65:66], v[105:106]
	v_mul_f64 v[65:66], v[26:27], v[65:66]
	v_add_f64 v[81:82], v[81:82], v[87:88]
	v_fma_f64 v[93:94], v[89:90], s[14:15], v[95:96]
	v_add_f64 v[95:96], v[101:102], v[87:88]
	v_add_f64 v[101:102], v[103:104], v[109:110]
	v_fma_f64 v[103:104], v[10:11], s[14:15], v[107:108]
	v_fma_f64 v[87:88], v[89:90], s[14:15], v[91:92]
	v_add_f64 v[85:86], v[85:86], v[109:110]
	v_fma_f64 v[83:84], v[10:11], s[14:15], v[83:84]
	v_mul_f64 v[10:11], v[46:47], v[97:98]
	v_mul_f64 v[89:90], v[50:51], v[119:120]
	;; [unrolled: 1-line block ×8, first 2 shown]
	v_fma_f64 v[26:27], v[26:27], v[63:64], v[111:112]
	v_mov_b32_e32 v125, v57
	v_fma_f64 v[91:92], v[8:9], v[52:53], v[91:92]
	v_fma_f64 v[107:108], v[18:19], v[59:60], v[107:108]
	;; [unrolled: 1-line block ×3, first 2 shown]
	v_fma_f64 v[50:51], v[48:49], v[119:120], -v[50:51]
	v_fma_f64 v[97:98], v[44:45], v[97:98], -v[46:47]
	;; [unrolled: 1-line block ×4, first 2 shown]
	v_mul_f64 v[18:19], v[18:19], v[61:62]
	v_mul_f64 v[8:9], v[8:9], v[54:55]
	v_fma_f64 v[22:23], v[6:7], v[44:45], v[10:11]
	v_fma_f64 v[24:25], v[12:13], v[48:49], v[89:90]
	v_add_f64 v[44:45], v[91:92], -v[107:108]
	v_add_f64 v[48:49], v[20:21], -v[26:27]
	v_add_f64 v[54:55], v[97:98], v[50:51]
	v_add_f64 v[61:62], v[63:64], v[46:47]
	v_fma_f64 v[59:60], v[59:60], v[113:114], -v[18:19]
	v_fma_f64 v[52:53], v[52:53], v[128:129], -v[8:9]
	v_add_f64 v[26:27], v[20:21], v[26:27]
	v_add_f64 v[109:110], v[22:23], v[24:25]
	v_add_f64 v[12:13], v[81:82], -v[87:88]
	v_add_f64 v[18:19], v[44:45], -v[48:49]
	;; [unrolled: 1-line block ×3, first 2 shown]
	v_add_f64 v[89:90], v[54:55], v[61:62]
	v_add_f64 v[10:11], v[83:84], v[85:86]
	;; [unrolled: 1-line block ×5, first 2 shown]
	v_add_f64 v[24:25], v[95:96], -v[93:94]
	v_mul_f64 v[87:88], v[18:19], s[18:19]
	v_add_f64 v[18:19], v[85:86], -v[83:84]
	v_add_f64 v[85:86], v[109:110], v[26:27]
	v_add_f64 v[81:82], v[65:66], -v[44:45]
	v_add_f64 v[83:84], v[105:106], v[89:90]
	v_add_f64 v[89:90], v[91:92], v[107:108]
	;; [unrolled: 1-line block ×3, first 2 shown]
	v_add_f64 v[52:53], v[52:53], -v[59:60]
	v_add_f64 v[59:60], v[63:64], -v[46:47]
	;; [unrolled: 1-line block ×5, first 2 shown]
	v_add_f64 v[46:47], v[71:72], v[83:84]
	v_add_f64 v[71:72], v[105:106], -v[61:62]
	v_add_f64 v[85:86], v[89:90], v[85:86]
	v_add_f64 v[95:96], v[89:90], -v[26:27]
	;; [unrolled: 2-line block ×3, first 2 shown]
	v_add_f64 v[6:7], v[101:102], -v[103:104]
	v_add_f64 v[22:23], v[103:104], v[101:102]
	v_fma_f64 v[83:84], v[83:84], s[20:21], v[46:47]
	v_mul_f64 v[71:72], v[71:72], s[16:17]
	v_add_f64 v[44:45], v[0:1], v[85:86]
	v_add_f64 v[0:1], v[109:110], -v[89:90]
	v_mul_f64 v[89:90], v[95:96], s[16:17]
	v_add_f64 v[95:96], v[50:51], -v[52:53]
	v_add_f64 v[52:53], v[52:53], v[59:60]
	v_add_f64 v[59:60], v[59:60], -v[50:51]
	v_mul_f64 v[101:102], v[63:64], s[6:7]
	v_mul_f64 v[97:98], v[97:98], s[18:19]
	v_fma_f64 v[63:64], v[63:64], s[6:7], v[71:72]
	v_fma_f64 v[65:66], v[85:86], s[20:21], v[44:45]
	v_mul_f64 v[85:86], v[0:1], s[6:7]
	v_add_f64 v[54:55], v[61:62], -v[54:55]
	v_add_f64 v[50:51], v[50:51], v[52:53]
	v_mul_f64 v[52:53], v[48:49], s[4:5]
	v_add_f64 v[26:27], v[26:27], -v[109:110]
	v_mul_f64 v[61:62], v[59:60], s[4:5]
	v_fma_f64 v[91:92], v[81:82], s[24:25], v[87:88]
	v_fma_f64 v[0:1], v[0:1], s[6:7], v[89:90]
	;; [unrolled: 1-line block ×3, first 2 shown]
	v_add_f64 v[105:106], v[63:64], v[83:84]
	v_fma_f64 v[63:64], v[54:55], s[12:13], -v[101:102]
	v_fma_f64 v[52:53], v[81:82], s[22:23], -v[52:53]
	;; [unrolled: 1-line block ×8, first 2 shown]
	v_fma_f64 v[91:92], v[93:94], s[14:15], v[91:92]
	v_add_f64 v[0:1], v[0:1], v[65:66]
	v_fma_f64 v[103:104], v[50:51], s[14:15], v[103:104]
	v_fma_f64 v[71:72], v[93:94], s[14:15], v[52:53]
	v_add_f64 v[85:86], v[63:64], v[83:84]
	v_add_f64 v[89:90], v[81:82], v[65:66]
	v_fma_f64 v[95:96], v[50:51], s[14:15], v[61:62]
	v_add_f64 v[81:82], v[54:55], v[83:84]
	v_fma_f64 v[83:84], v[93:94], s[14:15], v[48:49]
	;; [unrolled: 2-line block ×3, first 2 shown]
	v_add_f64 v[54:55], v[91:92], v[105:106]
	v_add_f64 v[52:53], v[0:1], -v[103:104]
	v_add_f64 v[61:62], v[71:72], v[85:86]
	v_add_f64 v[59:60], v[89:90], -v[95:96]
	v_add_f64 v[91:92], v[105:106], -v[91:92]
	;; [unrolled: 1-line block ×3, first 2 shown]
	v_add_f64 v[83:84], v[83:84], v[81:82]
	v_add_f64 v[63:64], v[87:88], v[26:27]
	v_add_f64 v[81:82], v[26:27], -v[87:88]
	v_add_f64 v[87:88], v[85:86], -v[71:72]
	v_add_f64 v[85:86], v[95:96], v[89:90]
	v_add_f64 v[89:90], v[103:104], v[0:1]
	v_mov_b32_e32 v0, s3
	v_add_co_u32_e32 v71, vcc, s2, v126
	v_addc_co_u32_e32 v72, vcc, v0, v127, vcc
	v_lshlrev_b64 v[0:1], 4, v[124:125]
	v_add_f64 v[50:51], v[99:100], -v[134:135]
	v_add_co_u32_e32 v0, vcc, v71, v0
	v_addc_co_u32_e32 v1, vcc, v72, v1, vcc
	v_add_co_u32_e32 v26, vcc, s0, v0
	v_add_f64 v[48:49], v[138:139], v[136:137]
	v_addc_co_u32_e32 v27, vcc, 0, v1, vcc
	global_store_dwordx4 v[0:1], v[44:47], off
	global_store_dwordx4 v[0:1], v[89:92], off offset:2688
	v_add_co_u32_e32 v44, vcc, s1, v0
	v_addc_co_u32_e32 v45, vcc, 0, v1, vcc
	s_movk_i32 s2, 0x3000
	v_add_f64 v[79:80], v[134:135], v[99:100]
	v_add_f64 v[77:78], v[136:137], -v[138:139]
	v_add_co_u32_e32 v46, vcc, s2, v0
	v_addc_co_u32_e32 v47, vcc, 0, v1, vcc
	v_or_b32_e32 v56, 0x380, v124
	global_store_dwordx4 v[26:27], v[85:88], off offset:1280
	global_store_dwordx4 v[26:27], v[81:84], off offset:3968
	global_store_dwordx4 v[44:45], v[63:66], off offset:2560
	global_store_dwordx4 v[46:47], v[59:62], off offset:1152
	global_store_dwordx4 v[46:47], v[52:55], off offset:3840
	global_store_dwordx4 v[0:1], v[2:5], off offset:896
	global_store_dwordx4 v[0:1], v[48:51], off offset:3584
	global_store_dwordx4 v[26:27], v[22:25], off offset:2176
	global_store_dwordx4 v[44:45], v[18:21], off offset:768
	global_store_dwordx4 v[44:45], v[10:13], off offset:3456
	v_lshlrev_b64 v[2:3], 4, v[56:57]
	s_mov_b32 s3, 0x18618619
	v_add_co_u32_e32 v2, vcc, v71, v2
	v_mul_hi_u32 v4, v58, s3
	v_addc_co_u32_e32 v3, vcc, v72, v3, vcc
	s_movk_i32 s2, 0x4000
	global_store_dwordx4 v[2:3], v[6:9], off
	v_add_co_u32_e32 v2, vcc, s2, v0
	v_addc_co_u32_e32 v3, vcc, 0, v1, vcc
	global_store_dwordx4 v[2:3], v[77:80], off offset:640
	v_lshrrev_b32_e32 v2, 1, v4
	v_mul_u32_u24_e32 v56, 0x3f0, v2
	v_lshlrev_b64 v[2:3], 4, v[56:57]
	s_movk_i32 s2, 0x700
	v_add_co_u32_e32 v0, vcc, v0, v2
	v_addc_co_u32_e32 v1, vcc, v1, v3, vcc
	v_add_co_u32_e32 v2, vcc, s2, v0
	v_addc_co_u32_e32 v3, vcc, 0, v1, vcc
	global_store_dwordx4 v[0:1], v[40:43], off offset:1792
	global_store_dwordx4 v[2:3], v[73:76], off offset:2688
	v_add_co_u32_e32 v2, vcc, s0, v0
	v_addc_co_u32_e32 v3, vcc, 0, v1, vcc
	global_store_dwordx4 v[2:3], v[67:70], off offset:3072
	v_add_co_u32_e32 v2, vcc, s1, v0
	v_addc_co_u32_e32 v3, vcc, 0, v1, vcc
	global_store_dwordx4 v[2:3], v[14:17], off offset:1664
	v_add_co_u32_e32 v2, vcc, 0x3000, v0
	v_addc_co_u32_e32 v3, vcc, 0, v1, vcc
	v_add_co_u32_e32 v0, vcc, 0x4000, v0
	v_addc_co_u32_e32 v1, vcc, 0, v1, vcc
	global_store_dwordx4 v[2:3], v[36:39], off offset:256
	global_store_dwordx4 v[2:3], v[32:35], off offset:2944
	;; [unrolled: 1-line block ×3, first 2 shown]
.LBB0_37:
	s_endpgm
	.section	.rodata,"a",@progbits
	.p2align	6, 0x0
	.amdhsa_kernel fft_rtc_back_len1176_factors_2_2_2_3_7_7_wgs_56_tpt_56_halfLds_dp_ip_CI_unitstride_sbrr_dirReg
		.amdhsa_group_segment_fixed_size 0
		.amdhsa_private_segment_fixed_size 0
		.amdhsa_kernarg_size 88
		.amdhsa_user_sgpr_count 6
		.amdhsa_user_sgpr_private_segment_buffer 1
		.amdhsa_user_sgpr_dispatch_ptr 0
		.amdhsa_user_sgpr_queue_ptr 0
		.amdhsa_user_sgpr_kernarg_segment_ptr 1
		.amdhsa_user_sgpr_dispatch_id 0
		.amdhsa_user_sgpr_flat_scratch_init 0
		.amdhsa_user_sgpr_private_segment_size 0
		.amdhsa_uses_dynamic_stack 0
		.amdhsa_system_sgpr_private_segment_wavefront_offset 0
		.amdhsa_system_sgpr_workgroup_id_x 1
		.amdhsa_system_sgpr_workgroup_id_y 0
		.amdhsa_system_sgpr_workgroup_id_z 0
		.amdhsa_system_sgpr_workgroup_info 0
		.amdhsa_system_vgpr_workitem_id 0
		.amdhsa_next_free_vgpr 178
		.amdhsa_next_free_sgpr 28
		.amdhsa_reserve_vcc 1
		.amdhsa_reserve_flat_scratch 0
		.amdhsa_float_round_mode_32 0
		.amdhsa_float_round_mode_16_64 0
		.amdhsa_float_denorm_mode_32 3
		.amdhsa_float_denorm_mode_16_64 3
		.amdhsa_dx10_clamp 1
		.amdhsa_ieee_mode 1
		.amdhsa_fp16_overflow 0
		.amdhsa_exception_fp_ieee_invalid_op 0
		.amdhsa_exception_fp_denorm_src 0
		.amdhsa_exception_fp_ieee_div_zero 0
		.amdhsa_exception_fp_ieee_overflow 0
		.amdhsa_exception_fp_ieee_underflow 0
		.amdhsa_exception_fp_ieee_inexact 0
		.amdhsa_exception_int_div_zero 0
	.end_amdhsa_kernel
	.text
.Lfunc_end0:
	.size	fft_rtc_back_len1176_factors_2_2_2_3_7_7_wgs_56_tpt_56_halfLds_dp_ip_CI_unitstride_sbrr_dirReg, .Lfunc_end0-fft_rtc_back_len1176_factors_2_2_2_3_7_7_wgs_56_tpt_56_halfLds_dp_ip_CI_unitstride_sbrr_dirReg
                                        ; -- End function
	.section	.AMDGPU.csdata,"",@progbits
; Kernel info:
; codeLenInByte = 13964
; NumSgprs: 32
; NumVgprs: 178
; ScratchSize: 0
; MemoryBound: 1
; FloatMode: 240
; IeeeMode: 1
; LDSByteSize: 0 bytes/workgroup (compile time only)
; SGPRBlocks: 3
; VGPRBlocks: 44
; NumSGPRsForWavesPerEU: 32
; NumVGPRsForWavesPerEU: 178
; Occupancy: 1
; WaveLimiterHint : 1
; COMPUTE_PGM_RSRC2:SCRATCH_EN: 0
; COMPUTE_PGM_RSRC2:USER_SGPR: 6
; COMPUTE_PGM_RSRC2:TRAP_HANDLER: 0
; COMPUTE_PGM_RSRC2:TGID_X_EN: 1
; COMPUTE_PGM_RSRC2:TGID_Y_EN: 0
; COMPUTE_PGM_RSRC2:TGID_Z_EN: 0
; COMPUTE_PGM_RSRC2:TIDIG_COMP_CNT: 0
	.type	__hip_cuid_7f48d2e2d237bcf7,@object ; @__hip_cuid_7f48d2e2d237bcf7
	.section	.bss,"aw",@nobits
	.globl	__hip_cuid_7f48d2e2d237bcf7
__hip_cuid_7f48d2e2d237bcf7:
	.byte	0                               ; 0x0
	.size	__hip_cuid_7f48d2e2d237bcf7, 1

	.ident	"AMD clang version 19.0.0git (https://github.com/RadeonOpenCompute/llvm-project roc-6.4.0 25133 c7fe45cf4b819c5991fe208aaa96edf142730f1d)"
	.section	".note.GNU-stack","",@progbits
	.addrsig
	.addrsig_sym __hip_cuid_7f48d2e2d237bcf7
	.amdgpu_metadata
---
amdhsa.kernels:
  - .args:
      - .actual_access:  read_only
        .address_space:  global
        .offset:         0
        .size:           8
        .value_kind:     global_buffer
      - .offset:         8
        .size:           8
        .value_kind:     by_value
      - .actual_access:  read_only
        .address_space:  global
        .offset:         16
        .size:           8
        .value_kind:     global_buffer
      - .actual_access:  read_only
        .address_space:  global
        .offset:         24
        .size:           8
        .value_kind:     global_buffer
      - .offset:         32
        .size:           8
        .value_kind:     by_value
      - .actual_access:  read_only
        .address_space:  global
        .offset:         40
        .size:           8
        .value_kind:     global_buffer
      - .actual_access:  read_only
        .address_space:  global
        .offset:         48
        .size:           8
        .value_kind:     global_buffer
      - .offset:         56
        .size:           4
        .value_kind:     by_value
      - .actual_access:  read_only
        .address_space:  global
        .offset:         64
        .size:           8
        .value_kind:     global_buffer
      - .actual_access:  read_only
        .address_space:  global
        .offset:         72
        .size:           8
        .value_kind:     global_buffer
      - .address_space:  global
        .offset:         80
        .size:           8
        .value_kind:     global_buffer
    .group_segment_fixed_size: 0
    .kernarg_segment_align: 8
    .kernarg_segment_size: 88
    .language:       OpenCL C
    .language_version:
      - 2
      - 0
    .max_flat_workgroup_size: 56
    .name:           fft_rtc_back_len1176_factors_2_2_2_3_7_7_wgs_56_tpt_56_halfLds_dp_ip_CI_unitstride_sbrr_dirReg
    .private_segment_fixed_size: 0
    .sgpr_count:     32
    .sgpr_spill_count: 0
    .symbol:         fft_rtc_back_len1176_factors_2_2_2_3_7_7_wgs_56_tpt_56_halfLds_dp_ip_CI_unitstride_sbrr_dirReg.kd
    .uniform_work_group_size: 1
    .uses_dynamic_stack: false
    .vgpr_count:     178
    .vgpr_spill_count: 0
    .wavefront_size: 64
amdhsa.target:   amdgcn-amd-amdhsa--gfx906
amdhsa.version:
  - 1
  - 2
...

	.end_amdgpu_metadata
